;; amdgpu-corpus repo=ROCm/rocFFT kind=compiled arch=gfx906 opt=O3
	.text
	.amdgcn_target "amdgcn-amd-amdhsa--gfx906"
	.amdhsa_code_object_version 6
	.protected	bluestein_single_fwd_len1638_dim1_sp_op_CI_CI ; -- Begin function bluestein_single_fwd_len1638_dim1_sp_op_CI_CI
	.globl	bluestein_single_fwd_len1638_dim1_sp_op_CI_CI
	.p2align	8
	.type	bluestein_single_fwd_len1638_dim1_sp_op_CI_CI,@function
bluestein_single_fwd_len1638_dim1_sp_op_CI_CI: ; @bluestein_single_fwd_len1638_dim1_sp_op_CI_CI
; %bb.0:
	s_mov_b64 s[26:27], s[2:3]
	s_mov_b64 s[24:25], s[0:1]
	s_load_dwordx4 s[0:3], s[4:5], 0x28
	v_mul_u32_u24_e32 v1, 0x169, v0
	v_add_u32_sdwa v197, s6, v1 dst_sel:DWORD dst_unused:UNUSED_PAD src0_sel:DWORD src1_sel:WORD_1
	v_mov_b32_e32 v198, 0
	s_add_u32 s24, s24, s7
	s_waitcnt lgkmcnt(0)
	v_cmp_gt_u64_e32 vcc, s[0:1], v[197:198]
	s_addc_u32 s25, s25, 0
	s_and_saveexec_b64 s[0:1], vcc
	s_cbranch_execz .LBB0_31
; %bb.1:
	s_load_dwordx2 s[14:15], s[4:5], 0x0
	s_load_dwordx2 s[12:13], s[4:5], 0x38
	s_movk_i32 s0, 0xb6
	v_mul_lo_u16_sdwa v1, v1, s0 dst_sel:DWORD dst_unused:UNUSED_PAD src0_sel:WORD_1 src1_sel:DWORD
	v_sub_u16_e32 v215, v0, v1
	s_movk_i32 s0, 0x7e
	v_cmp_gt_u16_e64 s[0:1], s0, v215
	v_lshlrev_b32_e32 v99, 3, v215
	s_and_saveexec_b64 s[6:7], s[0:1]
	s_cbranch_execz .LBB0_3
; %bb.2:
	s_load_dwordx2 s[8:9], s[4:5], 0x18
	s_waitcnt lgkmcnt(0)
	s_load_dwordx4 s[8:11], s[8:9], 0x0
	s_waitcnt lgkmcnt(0)
	v_mad_u64_u32 v[0:1], s[16:17], s10, v197, 0
	v_mad_u64_u32 v[2:3], s[16:17], s8, v215, 0
	;; [unrolled: 1-line block ×4, first 2 shown]
	v_mov_b32_e32 v1, v4
	v_lshlrev_b64 v[0:1], 3, v[0:1]
	v_mov_b32_e32 v3, v5
	v_mov_b32_e32 v6, s3
	v_lshlrev_b64 v[2:3], 3, v[2:3]
	v_add_co_u32_e32 v0, vcc, s2, v0
	v_addc_co_u32_e32 v1, vcc, v6, v1, vcc
	v_add_co_u32_e32 v0, vcc, v0, v2
	v_addc_co_u32_e32 v1, vcc, v1, v3, vcc
	v_mov_b32_e32 v2, s15
	v_add_co_u32_e32 v40, vcc, s14, v99
	s_mul_i32 s2, s9, 0x3f0
	s_mul_hi_u32 s3, s8, 0x3f0
	v_addc_co_u32_e32 v41, vcc, 0, v2, vcc
	s_add_i32 s2, s3, s2
	s_mul_i32 s3, s8, 0x3f0
	v_mov_b32_e32 v3, s2
	v_add_co_u32_e32 v2, vcc, s3, v0
	v_addc_co_u32_e32 v3, vcc, v1, v3, vcc
	v_mov_b32_e32 v5, s2
	v_add_co_u32_e32 v4, vcc, s3, v2
	v_addc_co_u32_e32 v5, vcc, v3, v5, vcc
	;; [unrolled: 3-line block ×3, first 2 shown]
	global_load_dwordx2 v[8:9], v[0:1], off
	global_load_dwordx2 v[10:11], v[2:3], off
	;; [unrolled: 1-line block ×4, first 2 shown]
	global_load_dwordx2 v[16:17], v99, s[14:15]
	global_load_dwordx2 v[18:19], v99, s[14:15] offset:1008
	global_load_dwordx2 v[20:21], v99, s[14:15] offset:2016
	;; [unrolled: 1-line block ×3, first 2 shown]
	v_mov_b32_e32 v1, s2
	v_add_co_u32_e32 v0, vcc, s3, v6
	v_addc_co_u32_e32 v1, vcc, v7, v1, vcc
	global_load_dwordx2 v[2:3], v[0:1], off
	global_load_dwordx2 v[4:5], v99, s[14:15] offset:4032
	v_mov_b32_e32 v6, s2
	v_add_co_u32_e32 v0, vcc, s3, v0
	v_addc_co_u32_e32 v1, vcc, v1, v6, vcc
	s_movk_i32 s8, 0x1000
	v_add_co_u32_e32 v24, vcc, s8, v40
	v_addc_co_u32_e32 v25, vcc, 0, v41, vcc
	global_load_dwordx2 v[6:7], v[0:1], off
	v_mov_b32_e32 v26, s2
	v_add_co_u32_e32 v0, vcc, s3, v0
	v_addc_co_u32_e32 v1, vcc, v1, v26, vcc
	global_load_dwordx2 v[26:27], v[0:1], off
	v_mov_b32_e32 v28, s2
	;; [unrolled: 4-line block ×3, first 2 shown]
	v_add_co_u32_e32 v0, vcc, s3, v0
	v_addc_co_u32_e32 v1, vcc, v1, v30, vcc
	global_load_dwordx2 v[30:31], v[0:1], off
	global_load_dwordx2 v[32:33], v[24:25], off offset:944
	global_load_dwordx2 v[34:35], v[24:25], off offset:1952
	;; [unrolled: 1-line block ×4, first 2 shown]
	v_mov_b32_e32 v24, s2
	v_add_co_u32_e32 v0, vcc, s3, v0
	v_addc_co_u32_e32 v1, vcc, v1, v24, vcc
	s_movk_i32 s8, 0x2000
	v_add_co_u32_e32 v40, vcc, s8, v40
	v_addc_co_u32_e32 v41, vcc, 0, v41, vcc
	global_load_dwordx2 v[24:25], v[0:1], off
	v_mov_b32_e32 v42, s2
	v_add_co_u32_e32 v0, vcc, s3, v0
	v_addc_co_u32_e32 v1, vcc, v1, v42, vcc
	global_load_dwordx2 v[42:43], v[40:41], off offset:880
	global_load_dwordx2 v[44:45], v[0:1], off
	global_load_dwordx2 v[46:47], v[40:41], off offset:1888
	v_mov_b32_e32 v48, s2
	v_add_co_u32_e32 v0, vcc, s3, v0
	v_addc_co_u32_e32 v1, vcc, v1, v48, vcc
	global_load_dwordx2 v[48:49], v[0:1], off
	global_load_dwordx2 v[50:51], v[40:41], off offset:2896
	v_mov_b32_e32 v52, s2
	v_add_co_u32_e32 v0, vcc, s3, v0
	v_addc_co_u32_e32 v1, vcc, v1, v52, vcc
	global_load_dwordx2 v[52:53], v[0:1], off
	global_load_dwordx2 v[54:55], v[40:41], off offset:3904
	s_waitcnt vmcnt(21)
	v_mul_f32_e32 v0, v9, v17
	v_mul_f32_e32 v1, v8, v17
	v_fmac_f32_e32 v0, v8, v16
	v_fma_f32 v1, v9, v16, -v1
	s_waitcnt vmcnt(20)
	v_mul_f32_e32 v8, v11, v19
	v_mul_f32_e32 v9, v10, v19
	v_fmac_f32_e32 v8, v10, v18
	v_fma_f32 v9, v11, v18, -v9
	ds_write2_b64 v99, v[0:1], v[8:9] offset1:126
	s_waitcnt vmcnt(19)
	v_mul_f32_e32 v0, v13, v21
	v_mul_f32_e32 v1, v12, v21
	s_waitcnt vmcnt(18)
	v_mul_f32_e32 v8, v15, v23
	v_mul_f32_e32 v9, v14, v23
	v_fmac_f32_e32 v0, v12, v20
	v_fma_f32 v1, v13, v20, -v1
	v_fmac_f32_e32 v8, v14, v22
	v_fma_f32 v9, v15, v22, -v9
	v_add_u32_e32 v10, 0x400, v99
	ds_write2_b64 v10, v[0:1], v[8:9] offset0:124 offset1:250
	s_waitcnt vmcnt(16)
	v_mul_f32_e32 v0, v3, v5
	v_mul_f32_e32 v1, v2, v5
	v_fmac_f32_e32 v0, v2, v4
	v_fma_f32 v1, v3, v4, -v1
	v_add_u32_e32 v4, 0xc00, v99
	s_waitcnt vmcnt(11)
	v_mul_f32_e32 v2, v7, v33
	v_mul_f32_e32 v3, v6, v33
	v_fmac_f32_e32 v2, v6, v32
	v_fma_f32 v3, v7, v32, -v3
	ds_write2_b64 v4, v[0:1], v[2:3] offset0:120 offset1:246
	s_waitcnt vmcnt(10)
	v_mul_f32_e32 v0, v27, v35
	v_mul_f32_e32 v1, v26, v35
	s_waitcnt vmcnt(9)
	v_mul_f32_e32 v2, v29, v37
	v_mul_f32_e32 v3, v28, v37
	v_fmac_f32_e32 v0, v26, v34
	v_fma_f32 v1, v27, v34, -v1
	v_fmac_f32_e32 v2, v28, v36
	v_fma_f32 v3, v29, v36, -v3
	v_add_u32_e32 v4, 0x1400, v99
	ds_write2_b64 v4, v[0:1], v[2:3] offset0:116 offset1:242
	s_waitcnt vmcnt(8)
	v_mul_f32_e32 v0, v31, v39
	v_mul_f32_e32 v1, v30, v39
	v_fmac_f32_e32 v0, v30, v38
	s_waitcnt vmcnt(6)
	v_mul_f32_e32 v2, v25, v43
	v_mul_f32_e32 v3, v24, v43
	v_fma_f32 v1, v31, v38, -v1
	v_fmac_f32_e32 v2, v24, v42
	v_fma_f32 v3, v25, v42, -v3
	v_add_u32_e32 v4, 0x1c00, v99
	ds_write2_b64 v4, v[0:1], v[2:3] offset0:112 offset1:238
	s_waitcnt vmcnt(4)
	v_mul_f32_e32 v0, v45, v47
	v_mul_f32_e32 v1, v44, v47
	s_waitcnt vmcnt(2)
	v_mul_f32_e32 v2, v49, v51
	v_mul_f32_e32 v3, v48, v51
	v_fmac_f32_e32 v0, v44, v46
	v_fma_f32 v1, v45, v46, -v1
	v_fmac_f32_e32 v2, v48, v50
	v_fma_f32 v3, v49, v50, -v3
	v_add_u32_e32 v4, 0x2400, v99
	ds_write2_b64 v4, v[0:1], v[2:3] offset0:108 offset1:234
	s_waitcnt vmcnt(0)
	v_mul_f32_e32 v0, v53, v55
	v_mul_f32_e32 v1, v52, v55
	v_fmac_f32_e32 v0, v52, v54
	v_fma_f32 v1, v53, v54, -v1
	ds_write_b64 v99, v[0:1] offset:12096
.LBB0_3:
	s_or_b64 exec, exec, s[6:7]
	v_mov_b32_e32 v0, 0
	v_mov_b32_e32 v1, 0
	s_waitcnt lgkmcnt(0)
	s_barrier
	s_waitcnt lgkmcnt(0)
                                        ; implicit-def: $vgpr20
                                        ; implicit-def: $vgpr24
                                        ; implicit-def: $vgpr18
                                        ; implicit-def: $vgpr14
                                        ; implicit-def: $vgpr10
                                        ; implicit-def: $vgpr6
	s_and_saveexec_b64 s[2:3], s[0:1]
	s_cbranch_execz .LBB0_5
; %bb.4:
	v_add_u32_e32 v4, 0x400, v99
	v_add_u32_e32 v8, 0xc00, v99
	;; [unrolled: 1-line block ×5, first 2 shown]
	ds_read2_b64 v[0:3], v99 offset1:126
	ds_read2_b64 v[4:7], v4 offset0:124 offset1:250
	ds_read2_b64 v[8:11], v8 offset0:120 offset1:246
	;; [unrolled: 1-line block ×5, first 2 shown]
	ds_read_b64 v[24:25], v99 offset:12096
.LBB0_5:
	s_or_b64 exec, exec, s[2:3]
	s_waitcnt lgkmcnt(0)
	v_sub_f32_e32 v73, v3, v25
	v_mul_f32_e32 v30, 0xbeedf032, v73
	v_sub_f32_e32 v80, v5, v23
	v_add_f32_e32 v42, v24, v2
	v_sub_f32_e32 v57, v2, v24
	v_mov_b32_e32 v26, v30
	v_mul_f32_e32 v32, 0xbf52af12, v80
	v_add_f32_e32 v43, v25, v3
	s_mov_b32 s6, 0x3f62ad3f
	v_mul_f32_e32 v31, 0xbeedf032, v57
	v_fmac_f32_e32 v26, 0x3f62ad3f, v42
	v_add_f32_e32 v44, v22, v4
	v_sub_f32_e32 v74, v4, v22
	v_mov_b32_e32 v28, v32
	v_add_f32_e32 v26, v26, v0
	v_fma_f32 v27, v43, s6, -v31
	s_mov_b32 s7, 0x3f116cb1
	v_add_f32_e32 v45, v23, v5
	v_mul_f32_e32 v33, 0xbf52af12, v74
	v_fmac_f32_e32 v28, 0x3f116cb1, v44
	v_sub_f32_e32 v90, v7, v21
	v_add_f32_e32 v27, v27, v1
	v_add_f32_e32 v26, v28, v26
	v_fma_f32 v28, v45, s7, -v33
	v_mul_f32_e32 v34, 0xbf7e222b, v90
	v_add_f32_e32 v27, v28, v27
	v_add_f32_e32 v47, v20, v6
	v_sub_f32_e32 v84, v6, v20
	v_mov_b32_e32 v28, v34
	s_mov_b32 s10, 0x3df6dbef
	v_add_f32_e32 v48, v21, v7
	v_mul_f32_e32 v35, 0xbf7e222b, v84
	v_fmac_f32_e32 v28, 0x3df6dbef, v47
	v_sub_f32_e32 v92, v9, v19
	v_add_f32_e32 v26, v28, v26
	v_fma_f32 v28, v48, s10, -v35
	v_mul_f32_e32 v38, 0xbf6f5d39, v92
	v_add_f32_e32 v27, v28, v27
	v_add_f32_e32 v50, v18, v8
	v_sub_f32_e32 v91, v8, v18
	v_mov_b32_e32 v28, v38
	s_mov_b32 s11, 0xbeb58ec6
	v_add_f32_e32 v51, v19, v9
	v_mul_f32_e32 v39, 0xbf6f5d39, v91
	v_fmac_f32_e32 v28, 0xbeb58ec6, v50
	v_sub_f32_e32 v103, v11, v17
	;; [unrolled: 12-line block ×3, first 2 shown]
	v_add_f32_e32 v26, v28, v26
	v_fma_f32 v28, v53, s18, -v41
	v_mul_f32_e32 v46, 0xbe750f2a, v111
	v_add_f32_e32 v27, v28, v27
	v_add_f32_e32 v66, v14, v12
	v_mov_b32_e32 v28, v46
	v_sub_f32_e32 v104, v12, v14
	s_mov_b32 s19, 0xbf788fa5
	v_fmac_f32_e32 v28, 0xbf788fa5, v66
	v_add_f32_e32 v69, v15, v13
	v_mul_f32_e32 v49, 0xbe750f2a, v104
	v_mul_f32_e32 v54, 0xbf52af12, v73
	v_fma_f32 v29, v69, s19, -v49
	v_add_f32_e32 v36, v28, v26
	v_mov_b32_e32 v26, v54
	v_mul_f32_e32 v55, 0xbf6f5d39, v80
	v_add_f32_e32 v37, v29, v27
	v_fmac_f32_e32 v26, 0x3f116cb1, v42
	v_mov_b32_e32 v27, v55
	v_add_f32_e32 v26, v26, v0
	v_fmac_f32_e32 v27, 0xbeb58ec6, v44
	v_mul_f32_e32 v63, 0xbf52af12, v57
	v_add_f32_e32 v26, v27, v26
	v_fma_f32 v27, v43, s7, -v63
	v_mul_f32_e32 v65, 0xbf6f5d39, v74
	v_add_f32_e32 v27, v27, v1
	v_fma_f32 v28, v45, s11, -v65
	v_mul_f32_e32 v56, 0xbe750f2a, v90
	v_add_f32_e32 v27, v28, v27
	v_mov_b32_e32 v28, v56
	v_fmac_f32_e32 v28, 0xbf788fa5, v47
	v_mul_f32_e32 v68, 0xbe750f2a, v84
	v_add_f32_e32 v26, v28, v26
	v_fma_f32 v28, v48, s19, -v68
	v_mul_f32_e32 v62, 0x3f29c268, v92
	v_add_f32_e32 v27, v28, v27
	v_mov_b32_e32 v28, v62
	v_fmac_f32_e32 v28, 0xbf3f9e67, v50
	v_mul_f32_e32 v70, 0x3f29c268, v91
	v_add_f32_e32 v26, v28, v26
	v_fma_f32 v28, v51, s18, -v70
	v_mul_f32_e32 v64, 0x3f7e222b, v103
	v_add_f32_e32 v27, v28, v27
	v_mov_b32_e32 v28, v64
	v_fmac_f32_e32 v28, 0x3df6dbef, v52
	v_mul_f32_e32 v71, 0x3f7e222b, v93
	v_add_f32_e32 v26, v28, v26
	v_fma_f32 v28, v53, s10, -v71
	v_mul_f32_e32 v67, 0x3eedf032, v111
	v_add_f32_e32 v27, v28, v27
	v_mov_b32_e32 v28, v67
	v_fmac_f32_e32 v28, 0x3f62ad3f, v66
	v_mul_f32_e32 v72, 0x3eedf032, v104
	v_add_f32_e32 v58, v28, v26
	v_fma_f32 v26, v69, s6, -v72
	v_mul_f32_e32 v75, 0xbf7e222b, v73
	v_add_f32_e32 v59, v26, v27
	v_mov_b32_e32 v26, v75
	v_mul_f32_e32 v77, 0xbe750f2a, v80
	v_fmac_f32_e32 v26, 0x3df6dbef, v42
	v_mov_b32_e32 v27, v77
	v_add_f32_e32 v26, v26, v0
	v_fmac_f32_e32 v27, 0xbf788fa5, v44
	v_mul_f32_e32 v82, 0xbf7e222b, v57
	v_add_f32_e32 v26, v27, v26
	v_fma_f32 v27, v43, s10, -v82
	v_mul_f32_e32 v83, 0xbe750f2a, v74
	v_add_f32_e32 v27, v27, v1
	v_fma_f32 v28, v45, s19, -v83
	v_mul_f32_e32 v78, 0x3f6f5d39, v90
	v_add_f32_e32 v27, v28, v27
	v_mov_b32_e32 v28, v78
	v_fmac_f32_e32 v28, 0xbeb58ec6, v47
	v_mul_f32_e32 v86, 0x3f6f5d39, v84
	v_add_f32_e32 v26, v28, v26
	v_fma_f32 v28, v48, s11, -v86
	v_mul_f32_e32 v79, 0x3eedf032, v92
	v_add_f32_e32 v27, v28, v27
	v_mov_b32_e32 v28, v79
	v_fmac_f32_e32 v28, 0x3f62ad3f, v50
	v_mul_f32_e32 v87, 0x3eedf032, v91
	v_add_f32_e32 v26, v28, v26
	v_fma_f32 v28, v51, s6, -v87
	v_mul_f32_e32 v81, 0xbf52af12, v103
	v_add_f32_e32 v27, v28, v27
	v_mov_b32_e32 v28, v81
	v_fmac_f32_e32 v28, 0x3f116cb1, v52
	v_mul_f32_e32 v88, 0xbf52af12, v93
	v_add_f32_e32 v26, v28, v26
	v_fma_f32 v28, v53, s7, -v88
	v_mul_f32_e32 v85, 0xbf29c268, v111
	v_add_f32_e32 v27, v28, v27
	v_mov_b32_e32 v28, v85
	v_fmac_f32_e32 v28, 0xbf3f9e67, v66
	v_mul_f32_e32 v89, 0xbf29c268, v104
	v_add_f32_e32 v60, v28, v26
	v_fma_f32 v26, v69, s18, -v89
	v_mul_f32_e32 v95, 0xbf6f5d39, v73
	v_add_f32_e32 v61, v26, v27
	v_mov_b32_e32 v26, v95
	v_mul_f32_e32 v96, 0x3f29c268, v80
	;; [unrolled: 42-line block ×3, first 2 shown]
	v_fmac_f32_e32 v26, 0xbf3f9e67, v42
	v_mov_b32_e32 v27, v112
	v_add_f32_e32 v26, v26, v0
	v_fmac_f32_e32 v27, 0x3df6dbef, v44
	v_mul_f32_e32 v118, 0xbf29c268, v57
	v_add_f32_e32 v26, v27, v26
	v_fma_f32 v27, v43, s18, -v118
	v_mul_f32_e32 v119, 0x3f7e222b, v74
	v_add_f32_e32 v27, v27, v1
	v_fma_f32 v101, v45, s10, -v119
	v_mul_f32_e32 v114, 0xbf52af12, v90
	v_add_f32_e32 v27, v101, v27
	v_mov_b32_e32 v101, v114
	v_fmac_f32_e32 v101, 0x3f116cb1, v47
	v_mul_f32_e32 v120, 0xbf52af12, v84
	v_add_f32_e32 v26, v101, v26
	v_fma_f32 v101, v48, s7, -v120
	v_mul_f32_e32 v115, 0x3e750f2a, v92
	v_add_f32_e32 v27, v101, v27
	v_mov_b32_e32 v101, v115
	v_fmac_f32_e32 v101, 0xbf788fa5, v50
	;; [unrolled: 7-line block ×3, first 2 shown]
	v_mul_f32_e32 v122, 0x3eedf032, v93
	v_add_f32_e32 v26, v101, v26
	v_fma_f32 v101, v53, s6, -v122
	v_mul_f32_e32 v117, 0xbf6f5d39, v111
	s_load_dwordx2 s[8:9], s[4:5], 0x20
	s_load_dwordx2 s[16:17], s[4:5], 0x8
	v_add_f32_e32 v27, v101, v27
	v_mov_b32_e32 v101, v117
	v_fmac_f32_e32 v101, 0xbeb58ec6, v66
	v_mul_f32_e32 v123, 0xbf6f5d39, v104
	v_add_f32_e32 v26, v101, v26
	v_fma_f32 v101, v69, s11, -v123
	v_add_f32_e32 v27, v101, v27
	v_mul_lo_u16_e32 v101, 13, v215
	s_waitcnt lgkmcnt(0)
	s_barrier
	s_and_saveexec_b64 s[2:3], s[0:1]
	s_cbranch_execz .LBB0_7
; %bb.6:
	v_mul_f32_e32 v126, 0xbf788fa5, v43
	v_mov_b32_e32 v124, v126
	v_mul_f32_e32 v127, 0x3f62ad3f, v45
	v_fmac_f32_e32 v124, 0x3e750f2a, v57
	v_mov_b32_e32 v125, v127
	v_add_f32_e32 v124, v124, v1
	v_fmac_f32_e32 v125, 0xbeedf032, v74
	v_mul_f32_e32 v128, 0xbf3f9e67, v48
	v_add_f32_e32 v124, v125, v124
	v_mov_b32_e32 v125, v128
	v_fmac_f32_e32 v125, 0x3f29c268, v84
	v_mul_f32_e32 v129, 0x3f116cb1, v51
	v_add_f32_e32 v124, v125, v124
	v_mov_b32_e32 v125, v129
	;; [unrolled: 4-line block ×4, first 2 shown]
	v_mul_f32_e32 v80, 0x3eedf032, v80
	v_fmac_f32_e32 v125, 0xbf788fa5, v42
	v_mov_b32_e32 v131, v80
	v_add_f32_e32 v125, v125, v0
	v_fmac_f32_e32 v131, 0x3f62ad3f, v44
	v_mul_f32_e32 v90, 0xbf29c268, v90
	v_add_f32_e32 v125, v131, v125
	v_mov_b32_e32 v131, v90
	v_fmac_f32_e32 v131, 0xbf3f9e67, v47
	v_mul_f32_e32 v92, 0x3f52af12, v92
	v_fmac_f32_e32 v126, 0xbe750f2a, v57
	v_add_f32_e32 v125, v131, v125
	v_mov_b32_e32 v131, v92
	v_fmac_f32_e32 v127, 0x3eedf032, v74
	v_add_f32_e32 v57, v126, v1
	v_fma_f32 v73, v42, s19, -v73
	v_fmac_f32_e32 v131, 0x3f116cb1, v50
	v_mul_f32_e32 v103, 0xbf6f5d39, v103
	v_add_f32_e32 v57, v127, v57
	v_fmac_f32_e32 v128, 0xbf29c268, v84
	v_add_f32_e32 v73, v73, v0
	v_fma_f32 v74, v44, s6, -v80
	v_add_f32_e32 v125, v131, v125
	v_mov_b32_e32 v131, v103
	v_add_f32_e32 v57, v128, v57
	v_fmac_f32_e32 v129, 0x3f52af12, v91
	v_add_f32_e32 v73, v74, v73
	v_fma_f32 v74, v47, s18, -v90
	v_mul_f32_e32 v80, 0xbf3f9e67, v43
	v_fmac_f32_e32 v131, 0xbeb58ec6, v52
	v_mul_f32_e32 v132, 0x3df6dbef, v69
	v_add_f32_e32 v57, v129, v57
	v_fmac_f32_e32 v130, 0xbf6f5d39, v93
	v_add_f32_e32 v73, v74, v73
	v_fma_f32 v74, v50, s7, -v92
	v_add_f32_e32 v80, v118, v80
	v_mul_f32_e32 v84, 0x3df6dbef, v45
	v_add_f32_e32 v131, v131, v125
	v_mov_b32_e32 v125, v132
	v_mul_f32_e32 v111, 0x3f7e222b, v111
	v_add_f32_e32 v57, v130, v57
	v_fmac_f32_e32 v132, 0x3f7e222b, v104
	v_add_f32_e32 v73, v74, v73
	v_fma_f32 v74, v52, s11, -v103
	v_add_f32_e32 v84, v119, v84
	v_add_f32_e32 v80, v80, v1
	v_mul_f32_e32 v103, 0xbf3f9e67, v42
	v_fmac_f32_e32 v125, 0xbf7e222b, v104
	v_add_f32_e32 v73, v74, v73
	v_add_f32_e32 v74, v132, v57
	v_fma_f32 v57, v66, s10, -v111
	v_add_f32_e32 v80, v84, v80
	v_mul_f32_e32 v84, 0x3f116cb1, v48
	v_sub_f32_e32 v103, v103, v113
	v_mul_f32_e32 v104, 0x3df6dbef, v44
	v_add_f32_e32 v125, v125, v124
	v_mov_b32_e32 v124, v111
	v_add_f32_e32 v73, v57, v73
	v_mul_f32_e32 v57, 0x3f62ad3f, v42
	v_mul_f32_e32 v90, 0x3f62ad3f, v43
	v_add_f32_e32 v84, v120, v84
	v_mul_f32_e32 v91, 0x3f116cb1, v42
	v_mul_f32_e32 v92, 0x3f116cb1, v43
	;; [unrolled: 1-line block ×3, first 2 shown]
	v_sub_f32_e32 v104, v104, v112
	v_mul_f32_e32 v111, 0x3df6dbef, v43
	v_mul_f32_e32 v112, 0xbeb58ec6, v42
	;; [unrolled: 1-line block ×3, first 2 shown]
	v_add_f32_e32 v42, v103, v0
	v_mul_f32_e32 v43, 0x3f116cb1, v47
	v_add_f32_e32 v80, v84, v80
	v_mul_f32_e32 v84, 0xbf788fa5, v51
	v_add_f32_e32 v42, v104, v42
	v_sub_f32_e32 v43, v43, v114
	v_add_f32_e32 v84, v121, v84
	v_add_f32_e32 v42, v43, v42
	v_mul_f32_e32 v43, 0xbf788fa5, v50
	v_add_f32_e32 v80, v84, v80
	v_mul_f32_e32 v84, 0x3f62ad3f, v53
	v_sub_f32_e32 v43, v43, v115
	v_add_f32_e32 v84, v122, v84
	v_add_f32_e32 v42, v43, v42
	v_mul_f32_e32 v43, 0x3f62ad3f, v52
	v_add_f32_e32 v80, v84, v80
	v_mul_f32_e32 v84, 0xbeb58ec6, v69
	v_sub_f32_e32 v43, v43, v116
	v_add_f32_e32 v84, v123, v84
	v_add_f32_e32 v42, v43, v42
	v_mul_f32_e32 v43, 0xbeb58ec6, v66
	v_mul_f32_e32 v104, 0x3f116cb1, v45
	v_sub_f32_e32 v115, v43, v117
	v_mul_f32_e32 v116, 0xbeb58ec6, v45
	v_add_f32_e32 v43, v84, v80
	v_mul_f32_e32 v84, 0xbf788fa5, v45
	v_mul_f32_e32 v45, 0xbf3f9e67, v45
	v_add_f32_e32 v108, v108, v113
	v_add_f32_e32 v45, v105, v45
	;; [unrolled: 1-line block ×4, first 2 shown]
	v_mul_f32_e32 v108, 0x3f62ad3f, v48
	v_add_f32_e32 v106, v106, v108
	v_add_f32_e32 v45, v106, v45
	v_mul_f32_e32 v106, 0x3df6dbef, v51
	v_add_f32_e32 v106, v107, v106
	v_add_f32_e32 v45, v106, v45
	v_mul_f32_e32 v106, 0xbf788fa5, v53
	v_mul_f32_e32 v103, 0x3f116cb1, v44
	;; [unrolled: 1-line block ×5, first 2 shown]
	v_add_f32_e32 v106, v109, v106
	v_sub_f32_e32 v95, v112, v95
	v_mul_f32_e32 v113, 0x3df6dbef, v47
	v_mul_f32_e32 v108, 0xbf788fa5, v47
	;; [unrolled: 1-line block ×4, first 2 shown]
	v_add_f32_e32 v45, v106, v45
	v_mul_f32_e32 v106, 0x3f116cb1, v69
	v_sub_f32_e32 v44, v44, v96
	v_add_f32_e32 v95, v95, v0
	v_add_f32_e32 v106, v110, v106
	v_mul_f32_e32 v110, 0xbeb58ec6, v50
	v_mul_f32_e32 v96, 0xbf3f9e67, v50
	v_add_f32_e32 v44, v44, v95
	v_sub_f32_e32 v47, v47, v98
	v_mul_f32_e32 v98, 0x3f62ad3f, v50
	v_mul_f32_e32 v50, 0x3df6dbef, v50
	v_add_f32_e32 v44, v47, v44
	v_sub_f32_e32 v47, v50, v97
	v_add_f32_e32 v44, v47, v44
	v_mul_f32_e32 v47, 0xbf788fa5, v52
	v_sub_f32_e32 v47, v47, v94
	v_add_f32_e32 v44, v47, v44
	v_mul_f32_e32 v47, 0x3f116cb1, v66
	v_sub_f32_e32 v47, v47, v102
	v_add_f32_e32 v44, v47, v44
	v_add_f32_e32 v47, v82, v111
	v_mul_f32_e32 v105, 0x3df6dbef, v48
	v_mul_f32_e32 v107, 0xbf788fa5, v48
	v_mul_f32_e32 v48, 0xbeb58ec6, v48
	v_add_f32_e32 v83, v83, v84
	v_add_f32_e32 v47, v47, v1
	v_mul_f32_e32 v112, 0xbeb58ec6, v51
	v_mul_f32_e32 v95, 0xbf3f9e67, v51
	v_mul_f32_e32 v51, 0x3f62ad3f, v51
	;; [unrolled: 5-line block ×3, first 2 shown]
	v_add_f32_e32 v47, v48, v47
	v_add_f32_e32 v48, v87, v51
	;; [unrolled: 1-line block ×3, first 2 shown]
	v_mul_f32_e32 v106, 0xbf788fa5, v69
	v_mul_f32_e32 v84, 0x3f62ad3f, v69
	;; [unrolled: 1-line block ×3, first 2 shown]
	v_add_f32_e32 v47, v48, v47
	v_add_f32_e32 v48, v88, v53
	;; [unrolled: 1-line block ×5, first 2 shown]
	v_sub_f32_e32 v47, v93, v75
	v_add_f32_e32 v47, v47, v0
	v_sub_f32_e32 v51, v80, v77
	v_add_f32_e32 v47, v51, v47
	v_sub_f32_e32 v51, v109, v78
	v_add_f32_e32 v42, v115, v42
	v_mul_f32_e32 v115, 0xbf3f9e67, v52
	v_mul_f32_e32 v50, 0x3df6dbef, v52
	;; [unrolled: 1-line block ×3, first 2 shown]
	v_add_f32_e32 v47, v51, v47
	v_sub_f32_e32 v51, v98, v79
	v_fmac_f32_e32 v124, 0x3df6dbef, v66
	v_mul_f32_e32 v102, 0xbf788fa5, v66
	v_mul_f32_e32 v82, 0x3f62ad3f, v66
	;; [unrolled: 1-line block ×3, first 2 shown]
	v_add_f32_e32 v47, v51, v47
	v_sub_f32_e32 v51, v52, v81
	v_add_f32_e32 v47, v51, v47
	v_sub_f32_e32 v51, v66, v85
	v_add_f32_e32 v47, v51, v47
	v_add_f32_e32 v51, v63, v92
	;; [unrolled: 1-line block ×13, first 2 shown]
	v_sub_f32_e32 v52, v91, v54
	v_add_f32_e32 v31, v31, v90
	v_sub_f32_e32 v30, v57, v30
	v_add_f32_e32 v52, v52, v0
	v_add_f32_e32 v31, v31, v1
	;; [unrolled: 1-line block ×16, first 2 shown]
	v_sub_f32_e32 v32, v103, v32
	v_add_f32_e32 v1, v15, v1
	v_add_f32_e32 v0, v14, v0
	v_sub_f32_e32 v53, v114, v55
	v_add_f32_e32 v31, v33, v31
	v_add_f32_e32 v33, v35, v105
	v_add_f32_e32 v30, v32, v30
	v_sub_f32_e32 v32, v113, v34
	v_add_f32_e32 v1, v17, v1
	;; [unrolled: 4-line block ×9, first 2 shown]
	v_add_f32_e32 v30, v32, v30
	v_add_f32_e32 v1, v25, v1
	;; [unrolled: 1-line block ×3, first 2 shown]
	v_lshlrev_b32_e32 v2, 3, v101
	v_add_f32_e32 v124, v124, v131
	v_add_f32_e32 v50, v52, v50
	ds_write2_b64 v2, v[0:1], v[30:31] offset1:1
	ds_write2_b64 v2, v[50:51], v[47:48] offset0:2 offset1:3
	ds_write2_b64 v2, v[44:45], v[42:43] offset0:4 offset1:5
	;; [unrolled: 1-line block ×5, first 2 shown]
	ds_write_b64 v2, v[36:37] offset:96
.LBB0_7:
	s_or_b64 exec, exec, s[2:3]
	v_add_u32_e32 v4, 0x1800, v99
	s_waitcnt lgkmcnt(0)
	s_barrier
	ds_read2_b64 v[8:11], v4 offset0:51 offset1:233
	v_add_u32_e32 v4, 0xa00, v99
	v_add_u32_e32 v12, 0x2400, v99
	ds_read2_b64 v[0:3], v99 offset1:182
	ds_read2_b64 v[4:7], v4 offset0:44 offset1:226
	ds_read2_b64 v[12:15], v12 offset0:31 offset1:213
	s_movk_i32 s2, 0x5b
	v_cmp_gt_u16_e64 s[2:3], s2, v215
	s_and_saveexec_b64 s[4:5], s[2:3]
	s_cbranch_execz .LBB0_9
; %bb.8:
	ds_read_b64 v[26:27], v99 offset:5824
	ds_read_b64 v[28:29], v99 offset:12376
.LBB0_9:
	s_or_b64 exec, exec, s[4:5]
	s_movk_i32 s18, 0x4f
	v_mul_lo_u16_sdwa v16, v215, s18 dst_sel:DWORD dst_unused:UNUSED_PAD src0_sel:BYTE_0 src1_sel:DWORD
	v_add_co_u32_e32 v64, vcc, 0xb6, v215
	v_lshrrev_b16_e32 v18, 10, v16
	s_movk_i32 s10, 0x4ec5
	v_add_u16_e32 v25, 0x2d8, v215
	v_mul_lo_u16_e32 v16, 13, v18
	v_mul_u32_u24_sdwa v17, v64, s10 dst_sel:DWORD dst_unused:UNUSED_PAD src0_sel:WORD_0 src1_sel:DWORD
	v_mul_u32_u24_e32 v30, 0x4ec5, v25
	v_sub_u16_e32 v16, v215, v16
	v_lshrrev_b32_e32 v21, 18, v17
	v_lshrrev_b32_e32 v102, 18, v30
	s_mov_b64 s[4:5], vcc
	v_add_co_u32_e32 v62, vcc, 0x16c, v215
	v_and_b32_e32 v19, 0xff, v16
	v_mul_lo_u16_e32 v16, 13, v21
	v_mul_lo_u16_e32 v30, 13, v102
	v_sub_u16_e32 v22, v64, v16
	v_mul_u32_u24_sdwa v16, v62, s10 dst_sel:DWORD dst_unused:UNUSED_PAD src0_sel:WORD_0 src1_sel:DWORD
	v_sub_u16_e32 v103, v25, v30
	v_lshlrev_b32_e32 v20, 3, v19
	v_lshlrev_b32_e32 v23, 3, v22
	v_lshrrev_b32_e32 v24, 18, v16
	v_lshlrev_b32_e32 v25, 3, v103
	global_load_dwordx2 v[77:78], v25, s[16:17]
	global_load_dwordx2 v[81:82], v23, s[16:17]
	v_mul_lo_u16_e32 v25, 13, v24
	global_load_dwordx2 v[85:86], v20, s[16:17]
	v_sub_u16_e32 v20, v62, v25
	v_lshlrev_b32_e32 v23, 3, v20
	s_mov_b64 s[6:7], vcc
	global_load_dwordx2 v[79:80], v23, s[16:17]
	v_add_co_u32_e32 v23, vcc, 0x222, v215
	v_mul_u32_u24_sdwa v25, v23, s10 dst_sel:DWORD dst_unused:UNUSED_PAD src0_sel:WORD_0 src1_sel:DWORD
	v_lshrrev_b32_e32 v25, 18, v25
	v_mul_lo_u16_e32 v30, 13, v25
	v_sub_u16_e32 v23, v23, v30
	v_lshlrev_b32_e32 v30, 3, v23
	global_load_dwordx2 v[83:84], v30, s[16:17]
	v_mad_legacy_u16 v21, v21, 26, v22
	s_load_dwordx4 s[8:11], s[8:9], 0x0
	v_mul_u32_u24_e32 v18, 26, v18
	v_add_lshl_u32 v104, v18, v19, 3
	s_waitcnt vmcnt(0) lgkmcnt(0)
	s_barrier
	v_addc_co_u32_e64 v65, s[4:5], 0, 0, s[4:5]
	v_addc_co_u32_e64 v63, s[4:5], 0, 0, s[6:7]
	v_lshlrev_b32_e32 v105, 3, v21
	v_mul_f32_e32 v18, v29, v78
	v_mul_f32_e32 v31, v11, v82
	;; [unrolled: 1-line block ×5, first 2 shown]
	v_fma_f32 v8, v8, v85, -v22
	v_fmac_f32_e32 v30, v9, v85
	v_sub_f32_e32 v8, v0, v8
	v_mul_f32_e32 v33, v13, v80
	v_mul_f32_e32 v34, v12, v80
	v_fma_f32 v0, v0, 2.0, -v8
	v_mul_f32_e32 v19, v28, v78
	v_fma_f32 v10, v10, v81, -v31
	v_fmac_f32_e32 v32, v11, v81
	v_fma_f32 v12, v12, v79, -v33
	v_mul_f32_e32 v9, v15, v84
	v_mul_f32_e32 v22, v14, v84
	v_fma_f32 v14, v14, v83, -v9
	v_sub_f32_e32 v9, v1, v30
	v_fma_f32 v1, v1, 2.0, -v9
	v_fmac_f32_e32 v34, v13, v79
	v_fmac_f32_e32 v22, v15, v83
	ds_write2_b64 v104, v[0:1], v[8:9] offset1:13
	v_mad_legacy_u16 v0, v24, 26, v20
	v_fma_f32 v18, v28, v77, -v18
	v_fmac_f32_e32 v19, v29, v77
	v_sub_f32_e32 v10, v2, v10
	v_sub_f32_e32 v11, v3, v32
	;; [unrolled: 1-line block ×6, first 2 shown]
	v_lshlrev_b32_e32 v106, 3, v0
	v_mad_legacy_u16 v0, v25, 26, v23
	v_sub_f32_e32 v38, v26, v18
	v_sub_f32_e32 v39, v27, v19
	v_fma_f32 v2, v2, 2.0, -v10
	v_fma_f32 v3, v3, 2.0, -v11
	;; [unrolled: 1-line block ×6, first 2 shown]
	v_lshlrev_b32_e32 v76, 3, v0
	ds_write2_b64 v105, v[2:3], v[10:11] offset1:13
	ds_write2_b64 v106, v[4:5], v[12:13] offset1:13
	;; [unrolled: 1-line block ×3, first 2 shown]
	s_and_saveexec_b64 s[4:5], s[2:3]
	s_cbranch_execz .LBB0_11
; %bb.10:
	v_mad_legacy_u16 v2, v102, 26, v103
	v_fma_f32 v1, v27, 2.0, -v39
	v_fma_f32 v0, v26, 2.0, -v38
	v_lshlrev_b32_e32 v2, 3, v2
	ds_write2_b64 v2, v[0:1], v[38:39] offset1:13
.LBB0_11:
	s_or_b64 exec, exec, s[4:5]
	v_mul_lo_u16_sdwa v0, v215, s18 dst_sel:DWORD dst_unused:UNUSED_PAD src0_sel:BYTE_0 src1_sel:DWORD
	v_lshrrev_b16_e32 v26, 11, v0
	v_mul_lo_u16_e32 v0, 26, v26
	v_sub_u16_e32 v0, v215, v0
	v_and_b32_e32 v27, 0xff, v0
	v_lshlrev_b32_e32 v0, 4, v27
	v_lshrrev_b32_e32 v29, 19, v16
	s_waitcnt lgkmcnt(0)
	s_barrier
	global_load_dwordx4 v[12:15], v0, s[16:17] offset:104
	v_mul_lo_u16_e32 v0, 26, v29
	v_sub_u16_e32 v30, v62, v0
	v_lshlrev_b16_e32 v0, 4, v30
	v_mov_b32_e32 v2, s17
	v_add_co_u32_e32 v0, vcc, s16, v0
	v_lshrrev_b32_e32 v28, 19, v17
	v_addc_co_u32_e32 v1, vcc, 0, v2, vcc
	global_load_dwordx4 v[16:19], v[0:1], off offset:104
	v_mul_lo_u16_e32 v0, 26, v28
	v_sub_u16_e32 v31, v64, v0
	v_lshlrev_b16_e32 v0, 4, v31
	v_add_co_u32_e32 v0, vcc, s16, v0
	v_addc_co_u32_e32 v1, vcc, 0, v2, vcc
	global_load_dwordx4 v[20:23], v[0:1], off offset:104
	v_add_u32_e32 v8, 0xa00, v99
	v_add_u32_e32 v4, 0x1600, v99
	;; [unrolled: 1-line block ×3, first 2 shown]
	ds_read2_b64 v[0:3], v99 offset1:182
	ds_read2_b64 v[4:7], v4 offset0:24 offset1:206
	ds_read_b64 v[24:25], v99 offset:11648
	ds_read2_b64 v[40:43], v8 offset0:44 offset1:226
	ds_read2_b64 v[8:11], v9 offset0:68 offset1:250
	v_mul_u32_u24_e32 v26, 0x4e, v26
	s_movk_i32 s4, 0x4e
	v_add_lshl_u32 v107, v26, v27, 3
	s_waitcnt vmcnt(0) lgkmcnt(0)
	s_barrier
	s_waitcnt lgkmcnt(0)
                                        ; implicit-def: $vgpr68
	v_mul_f32_e32 v45, v42, v13
	v_mul_f32_e32 v47, v8, v15
	;; [unrolled: 1-line block ×4, first 2 shown]
	v_fmac_f32_e32 v45, v43, v12
	v_fmac_f32_e32 v47, v9, v14
	v_mul_f32_e32 v32, v7, v17
	v_mul_f32_e32 v33, v6, v17
	v_fma_f32 v32, v6, v16, -v32
	v_fmac_f32_e32 v33, v7, v16
	v_fma_f32 v6, v42, v12, -v44
	v_fma_f32 v7, v8, v14, -v46
	v_mul_f32_e32 v34, v25, v19
	v_mul_f32_e32 v35, v24, v19
	v_mul_f32_e32 v51, v10, v23
	v_mul_f32_e32 v48, v5, v21
	v_mul_f32_e32 v50, v11, v23
	v_fmac_f32_e32 v51, v11, v22
	v_add_f32_e32 v11, v45, v47
	v_mul_f32_e32 v49, v4, v21
	v_fma_f32 v4, v4, v20, -v48
	v_fma_f32 v8, v10, v22, -v50
	v_add_f32_e32 v9, v6, v7
	v_add_f32_e32 v10, v1, v45
	v_fma_f32 v1, -0.5, v11, v1
	v_fma_f32 v34, v24, v18, -v34
	v_fmac_f32_e32 v35, v25, v18
	v_fmac_f32_e32 v49, v5, v20
	v_add_f32_e32 v5, v0, v6
	v_sub_f32_e32 v25, v6, v7
	v_add_f32_e32 v6, v2, v4
	v_fma_f32 v0, -0.5, v9, v0
	v_mov_b32_e32 v9, v1
	v_sub_f32_e32 v24, v45, v47
	v_add_f32_e32 v42, v4, v8
	v_sub_f32_e32 v46, v4, v8
	v_add_f32_e32 v6, v6, v8
	v_mov_b32_e32 v8, v0
	v_fmac_f32_e32 v1, 0x3f5db3d7, v25
	v_fmac_f32_e32 v9, 0xbf5db3d7, v25
	v_add_f32_e32 v25, v32, v34
	v_fmac_f32_e32 v0, 0xbf5db3d7, v24
	v_fmac_f32_e32 v8, 0x3f5db3d7, v24
	v_add_f32_e32 v24, v40, v32
	v_fma_f32 v40, -0.5, v25, v40
	v_fma_f32 v2, -0.5, v42, v2
	v_sub_f32_e32 v25, v33, v35
	v_mov_b32_e32 v42, v40
	v_add_f32_e32 v45, v49, v51
	v_add_f32_e32 v4, v5, v7
	;; [unrolled: 1-line block ×3, first 2 shown]
	v_fmac_f32_e32 v42, 0x3f5db3d7, v25
	v_fmac_f32_e32 v40, 0xbf5db3d7, v25
	v_add_f32_e32 v25, v41, v33
	v_add_f32_e32 v33, v33, v35
	v_sub_f32_e32 v43, v49, v51
	v_add_f32_e32 v44, v3, v49
	v_fmac_f32_e32 v3, -0.5, v45
	v_mov_b32_e32 v10, v2
	v_fmac_f32_e32 v41, -0.5, v33
	ds_write2_b64 v107, v[4:5], v[8:9] offset1:26
	ds_write_b64 v107, v[0:1] offset:416
	v_mad_legacy_u16 v0, v28, s4, v31
	v_fmac_f32_e32 v2, 0xbf5db3d7, v43
	v_mov_b32_e32 v11, v3
	v_fmac_f32_e32 v10, 0x3f5db3d7, v43
	v_sub_f32_e32 v32, v32, v34
	v_mov_b32_e32 v43, v41
	v_lshlrev_b32_e32 v108, 3, v0
	v_mad_legacy_u16 v0, v29, s4, v30
	v_add_f32_e32 v7, v44, v51
	v_fmac_f32_e32 v11, 0xbf5db3d7, v46
	v_add_f32_e32 v24, v24, v34
	v_add_f32_e32 v25, v25, v35
	v_fmac_f32_e32 v43, 0xbf5db3d7, v32
	v_lshlrev_b32_e32 v109, 3, v0
	v_add_u32_e32 v0, 0xe00, v99
	v_fmac_f32_e32 v3, 0x3f5db3d7, v46
	v_fmac_f32_e32 v41, 0x3f5db3d7, v32
	ds_write2_b64 v108, v[6:7], v[10:11] offset1:26
	ds_write_b64 v108, v[2:3] offset:416
	ds_write2_b64 v109, v[24:25], v[42:43] offset1:26
	ds_write_b64 v109, v[40:41] offset:416
	s_waitcnt lgkmcnt(0)
	s_barrier
	ds_read2_b64 v[50:53], v0 offset0:20 offset1:254
	v_add_u32_e32 v0, 0x1d00, v99
	ds_read2_b64 v[46:49], v99 offset1:234
	ds_read2_b64 v[54:57], v0 offset0:8 offset1:242
	ds_read_b64 v[66:67], v99 offset:11232
	v_cmp_gt_u16_e64 s[4:5], 52, v215
	s_and_saveexec_b64 s[6:7], s[4:5]
	s_cbranch_execz .LBB0_13
; %bb.12:
	v_add_u32_e32 v1, 0x1400, v99
	ds_read2_b64 v[38:41], v1 offset0:10 offset1:244
	v_add_u32_e32 v1, 0x2280, v99
	v_add_u32_e32 v0, 0x580, v99
	ds_read2_b64 v[34:37], v1 offset0:14 offset1:248
	ds_read2_b64 v[42:45], v0 offset0:6 offset1:240
	ds_read_b64 v[68:69], v99 offset:12688
	s_waitcnt lgkmcnt(3)
	v_mov_b32_e32 v60, v40
	v_mov_b32_e32 v61, v41
	s_waitcnt lgkmcnt(2)
	v_mov_b32_e32 v58, v34
	v_mov_b32_e32 v59, v35
	;; [unrolled: 3-line block ×3, first 2 shown]
.LBB0_13:
	s_or_b64 exec, exec, s[6:7]
	v_lshrrev_b16_e32 v8, 1, v215
	v_lshrrev_b16_e32 v0, 1, v64
	v_and_b32_e32 v8, 0x7f, v8
	v_mul_u32_u24_e32 v0, 0x6907, v0
	v_mul_lo_u16_e32 v8, 0xd3, v8
	v_lshrrev_b32_e32 v0, 20, v0
	v_lshrrev_b16_e32 v73, 13, v8
	v_mul_lo_u16_e32 v0, 0x4e, v0
	v_mul_lo_u16_e32 v8, 0x4e, v73
	v_sub_u16_e32 v72, v64, v0
	v_sub_u16_e32 v8, v215, v8
	v_mul_lo_u16_e32 v0, 48, v72
	v_and_b32_e32 v74, 0xff, v8
	v_mov_b32_e32 v1, s17
	v_add_co_u32_e32 v44, vcc, s16, v0
	v_mad_u64_u32 v[70:71], s[6:7], v74, 48, s[16:17]
	v_addc_co_u32_e32 v45, vcc, 0, v1, vcc
	global_load_dwordx4 v[4:7], v[44:45], off offset:536
	global_load_dwordx4 v[0:3], v[44:45], off offset:552
	;; [unrolled: 1-line block ×6, first 2 shown]
	s_mov_b32 s6, 0x3f5ff5aa
	s_mov_b32 s18, 0xbf3bfb3b
	;; [unrolled: 1-line block ×4, first 2 shown]
	v_lshlrev_b32_e32 v205, 3, v72
	s_waitcnt vmcnt(0) lgkmcnt(0)
	s_barrier
	v_mul_f32_e32 v44, v61, v5
	v_mul_f32_e32 v45, v59, v7
	;; [unrolled: 1-line block ×7, first 2 shown]
	v_fma_f32 v90, v60, v4, -v44
	v_fma_f32 v91, v58, v6, -v45
	v_fmac_f32_e32 v71, v59, v6
	v_fma_f32 v36, v36, v0, -v75
	v_mul_f32_e32 v44, v49, v33
	v_mul_f32_e32 v45, v48, v33
	;; [unrolled: 1-line block ×8, first 2 shown]
	v_fmac_f32_e32 v70, v61, v4
	v_fmac_f32_e32 v87, v37, v0
	v_fma_f32 v37, v68, v2, -v88
	v_mul_f32_e32 v61, v52, v29
	v_mul_f32_e32 v68, v55, v31
	;; [unrolled: 1-line block ×5, first 2 shown]
	v_fma_f32 v44, v48, v32, -v44
	v_fmac_f32_e32 v45, v49, v32
	v_fma_f32 v48, v50, v34, -v58
	v_fmac_f32_e32 v59, v51, v34
	v_fma_f32 v49, v52, v28, -v60
	v_fma_f32 v51, v56, v24, -v75
	;; [unrolled: 1-line block ×3, first 2 shown]
	v_fmac_f32_e32 v89, v69, v2
	v_mul_f32_e32 v69, v54, v31
	v_mul_f32_e32 v95, v40, v9
	;; [unrolled: 1-line block ×3, first 2 shown]
	v_fma_f32 v50, v54, v30, -v68
	v_fmac_f32_e32 v88, v57, v24
	v_fmac_f32_e32 v93, v67, v26
	v_fmac_f32_e32 v97, v39, v10
	v_add_f32_e32 v39, v44, v52
	v_sub_f32_e32 v44, v44, v52
	v_add_f32_e32 v52, v48, v51
	v_mul_f32_e32 v94, v41, v9
	v_fmac_f32_e32 v61, v53, v28
	v_fmac_f32_e32 v69, v55, v30
	;; [unrolled: 1-line block ×3, first 2 shown]
	v_add_f32_e32 v41, v45, v93
	v_add_f32_e32 v53, v59, v88
	v_sub_f32_e32 v48, v48, v51
	v_add_f32_e32 v54, v49, v50
	v_sub_f32_e32 v49, v50, v49
	;; [unrolled: 2-line block ×5, first 2 shown]
	v_sub_f32_e32 v39, v39, v54
	v_sub_f32_e32 v52, v54, v52
	v_add_f32_e32 v60, v49, v48
	v_add_f32_e32 v54, v54, v56
	v_sub_f32_e32 v45, v45, v93
	v_sub_f32_e32 v59, v53, v41
	;; [unrolled: 1-line block ×4, first 2 shown]
	v_add_f32_e32 v61, v50, v51
	v_sub_f32_e32 v66, v49, v48
	v_sub_f32_e32 v67, v50, v51
	;; [unrolled: 1-line block ×4, first 2 shown]
	v_add_f32_e32 v55, v55, v57
	v_add_f32_e32 v56, v60, v44
	;; [unrolled: 1-line block ×3, first 2 shown]
	v_sub_f32_e32 v50, v45, v50
	v_sub_f32_e32 v51, v51, v45
	v_add_f32_e32 v57, v61, v45
	v_add_f32_e32 v45, v47, v55
	v_mul_f32_e32 v68, 0xbf08b237, v66
	v_mul_f32_e32 v66, 0xbf08b237, v67
	v_mov_b32_e32 v67, v44
	v_mul_f32_e32 v39, 0x3f4a47b2, v39
	v_mul_f32_e32 v61, 0x3f5ff5aa, v51
	v_fmac_f32_e32 v67, 0xbf955555, v54
	v_mov_b32_e32 v54, v45
	v_mul_f32_e32 v41, 0x3f4a47b2, v41
	v_mul_f32_e32 v46, 0x3d64c772, v52
	;; [unrolled: 1-line block ×3, first 2 shown]
	v_fmac_f32_e32 v54, 0xbf955555, v55
	v_fma_f32 v55, v58, s18, -v39
	v_fmac_f32_e32 v39, 0x3d64c772, v52
	v_fma_f32 v51, v51, s6, -v66
	;; [unrolled: 2-line block ×3, first 2 shown]
	v_fma_f32 v40, v40, v8, -v94
	v_fma_f32 v38, v38, v10, -v96
	v_mul_f32_e32 v47, 0x3d64c772, v53
	v_fma_f32 v46, v58, s7, -v46
	v_fma_f32 v52, v59, s18, -v41
	v_fmac_f32_e32 v41, 0x3d64c772, v53
	v_fma_f32 v53, v48, s6, -v68
	v_fmac_f32_e32 v68, 0x3eae86e6, v49
	v_fma_f32 v69, v49, s19, -v60
	v_add_f32_e32 v39, v39, v67
	v_add_f32_e32 v55, v55, v67
	v_fmac_f32_e32 v66, 0x3ee1c552, v57
	v_fmac_f32_e32 v50, 0x3ee1c552, v57
	v_fma_f32 v47, v59, s7, -v47
	v_add_f32_e32 v41, v41, v54
	v_add_f32_e32 v58, v46, v67
	;; [unrolled: 1-line block ×3, first 2 shown]
	v_fmac_f32_e32 v68, 0x3ee1c552, v56
	v_fmac_f32_e32 v51, 0x3ee1c552, v57
	;; [unrolled: 1-line block ×3, first 2 shown]
	v_add_f32_e32 v46, v66, v39
	v_add_f32_e32 v48, v50, v55
	v_sub_f32_e32 v60, v55, v50
	v_sub_f32_e32 v66, v39, v66
	v_add_f32_e32 v39, v40, v37
	v_add_f32_e32 v50, v38, v36
	;; [unrolled: 1-line block ×3, first 2 shown]
	v_fmac_f32_e32 v53, 0x3ee1c552, v56
	v_sub_f32_e32 v47, v41, v68
	v_sub_f32_e32 v49, v52, v69
	;; [unrolled: 1-line block ×3, first 2 shown]
	v_add_f32_e32 v58, v51, v58
	v_add_f32_e32 v61, v69, v52
	;; [unrolled: 1-line block ×8, first 2 shown]
	v_sub_f32_e32 v59, v59, v53
	v_sub_f32_e32 v37, v40, v37
	;; [unrolled: 1-line block ×3, first 2 shown]
	v_add_f32_e32 v53, v70, v71
	v_sub_f32_e32 v54, v91, v90
	v_sub_f32_e32 v55, v71, v70
	v_add_f32_e32 v69, v51, v41
	v_sub_f32_e32 v70, v50, v39
	v_sub_f32_e32 v39, v39, v52
	;; [unrolled: 1-line block ×3, first 2 shown]
	v_add_f32_e32 v52, v52, v68
	v_sub_f32_e32 v40, v95, v89
	v_sub_f32_e32 v38, v97, v87
	;; [unrolled: 1-line block ×5, first 2 shown]
	v_add_f32_e32 v75, v54, v36
	v_sub_f32_e32 v88, v54, v36
	v_sub_f32_e32 v90, v36, v37
	v_add_f32_e32 v53, v53, v69
	v_add_f32_e32 v36, v42, v52
	v_add_f32_e32 v87, v55, v38
	v_sub_f32_e32 v89, v55, v38
	v_sub_f32_e32 v54, v37, v54
	v_sub_f32_e32 v91, v38, v40
	v_add_f32_e32 v68, v75, v37
	v_add_f32_e32 v37, v43, v53
	v_mul_f32_e32 v38, 0xbf08b237, v88
	v_mov_b32_e32 v88, v36
	v_sub_f32_e32 v55, v40, v55
	v_add_f32_e32 v69, v87, v40
	v_mul_f32_e32 v40, 0x3f4a47b2, v39
	v_mul_f32_e32 v41, 0x3f4a47b2, v41
	v_mul_f32_e32 v42, 0x3d64c772, v50
	v_mul_f32_e32 v43, 0x3d64c772, v51
	v_mul_f32_e32 v39, 0xbf08b237, v89
	v_fmac_f32_e32 v88, 0xbf955555, v52
	v_mov_b32_e32 v52, v37
	v_fmac_f32_e32 v52, 0xbf955555, v53
	v_fma_f32 v42, v70, s7, -v42
	v_fma_f32 v43, v71, s7, -v43
	;; [unrolled: 1-line block ×3, first 2 shown]
	v_fmac_f32_e32 v40, 0x3d64c772, v50
	v_fma_f32 v50, v71, s18, -v41
	v_fma_f32 v71, v91, s6, -v39
	v_mul_f32_e32 v75, 0x3f5ff5aa, v90
	v_mul_f32_e32 v87, 0x3f5ff5aa, v91
	v_fmac_f32_e32 v41, 0x3d64c772, v51
	v_add_f32_e32 v42, v42, v88
	v_fmac_f32_e32 v71, 0x3ee1c552, v69
	v_fma_f32 v70, v90, s6, -v38
	v_fmac_f32_e32 v38, 0x3eae86e6, v54
	v_fmac_f32_e32 v39, 0x3eae86e6, v55
	v_fma_f32 v75, v54, s19, -v75
	v_fma_f32 v87, v55, s19, -v87
	v_add_f32_e32 v41, v41, v52
	v_add_f32_e32 v43, v43, v52
	;; [unrolled: 1-line block ×3, first 2 shown]
	v_sub_f32_e32 v52, v42, v71
	v_add_f32_e32 v54, v71, v42
	v_mul_u32_u24_e32 v42, 0x222, v73
	v_add_f32_e32 v40, v40, v88
	v_add_f32_e32 v88, v53, v88
	v_fmac_f32_e32 v38, 0x3ee1c552, v68
	v_fmac_f32_e32 v39, 0x3ee1c552, v69
	;; [unrolled: 1-line block ×5, first 2 shown]
	v_add_lshl_u32 v112, v42, v74, 3
	v_add_f32_e32 v50, v87, v88
	v_sub_f32_e32 v51, v90, v75
	v_add_f32_e32 v53, v70, v43
	v_sub_f32_e32 v55, v43, v70
	v_sub_f32_e32 v89, v88, v87
	v_add_f32_e32 v90, v75, v90
	v_sub_f32_e32 v87, v40, v39
	v_add_f32_e32 v88, v38, v41
	v_add_u32_e32 v42, 0x800, v112
	ds_write2_b64 v112, v[44:45], v[46:47] offset1:78
	ds_write2_b64 v112, v[48:49], v[56:57] offset0:156 offset1:234
	ds_write2_b64 v42, v[58:59], v[60:61] offset0:56 offset1:134
	ds_write_b64 v112, v[66:67] offset:3744
	s_and_saveexec_b64 s[6:7], s[4:5]
	s_cbranch_execz .LBB0_15
; %bb.14:
	v_sub_f32_e32 v41, v41, v38
	v_add_f32_e32 v40, v39, v40
	v_add_u32_e32 v38, 0x2000, v205
	ds_write2_b64 v38, v[36:37], v[40:41] offset0:68 offset1:146
	v_add_u32_e32 v36, 0x2400, v205
	ds_write2_b64 v36, v[50:51], v[52:53] offset0:96 offset1:174
	;; [unrolled: 2-line block ×3, first 2 shown]
	ds_write_b64 v205, v[87:88] offset:12480
.LBB0_15:
	s_or_b64 exec, exec, s[6:7]
	v_lshlrev_b32_e32 v36, 4, v215
	v_mov_b32_e32 v46, s17
	v_add_co_u32_e32 v36, vcc, s16, v36
	v_addc_co_u32_e32 v37, vcc, 0, v46, vcc
	s_movk_i32 s6, 0x1000
	v_add_co_u32_e32 v36, vcc, s6, v36
	v_lshlrev_b64 v[40:41], 4, v[64:65]
	v_addc_co_u32_e32 v37, vcc, 0, v37, vcc
	v_add_co_u32_e32 v40, vcc, s16, v40
	v_addc_co_u32_e32 v41, vcc, v46, v41, vcc
	v_add_co_u32_e32 v40, vcc, s6, v40
	v_lshlrev_b64 v[44:45], 4, v[62:63]
	v_addc_co_u32_e32 v41, vcc, 0, v41, vcc
	v_add_co_u32_e32 v44, vcc, s16, v44
	v_addc_co_u32_e32 v45, vcc, v46, v45, vcc
	s_waitcnt lgkmcnt(0)
	s_barrier
	global_load_dwordx4 v[36:39], v[36:37], off offset:168
	v_add_co_u32_e32 v44, vcc, s6, v44
	global_load_dwordx4 v[40:43], v[40:41], off offset:168
	v_addc_co_u32_e32 v45, vcc, 0, v45, vcc
	global_load_dwordx4 v[44:47], v[44:45], off offset:168
	v_add_u32_e32 v49, 0xa00, v99
	v_add_u32_e32 v48, 0x2000, v99
	ds_read2_b64 v[64:67], v49 offset0:44 offset1:226
	ds_read2_b64 v[56:59], v99 offset1:182
	v_add_u32_e32 v74, 0x1600, v99
	ds_read2_b64 v[60:63], v48 offset0:68 offset1:250
	ds_read_b64 v[72:73], v99 offset:11648
	ds_read2_b64 v[68:71], v74 offset0:24 offset1:206
	s_waitcnt vmcnt(2) lgkmcnt(4)
	v_mul_f32_e32 v75, v67, v37
	v_mul_f32_e32 v91, v66, v37
	s_waitcnt lgkmcnt(2)
	v_mul_f32_e32 v92, v61, v39
	v_mul_f32_e32 v93, v60, v39
	v_fma_f32 v66, v66, v36, -v75
	v_fmac_f32_e32 v91, v67, v36
	v_fma_f32 v60, v60, v38, -v92
	v_fmac_f32_e32 v93, v61, v38
	s_waitcnt vmcnt(1) lgkmcnt(0)
	v_mul_f32_e32 v61, v69, v41
	v_mul_f32_e32 v67, v63, v43
	;; [unrolled: 1-line block ×4, first 2 shown]
	s_waitcnt vmcnt(0)
	v_mul_f32_e32 v94, v71, v45
	v_fma_f32 v98, v68, v40, -v61
	v_fma_f32 v113, v62, v42, -v67
	v_add_f32_e32 v62, v66, v60
	v_add_f32_e32 v67, v91, v93
	v_mul_f32_e32 v95, v70, v45
	v_fmac_f32_e32 v75, v69, v40
	v_fmac_f32_e32 v92, v63, v42
	v_fma_f32 v94, v70, v44, -v94
	v_add_f32_e32 v61, v56, v66
	v_add_f32_e32 v63, v57, v91
	v_sub_f32_e32 v70, v66, v60
	v_fma_f32 v66, -0.5, v62, v56
	v_fma_f32 v67, -0.5, v67, v57
	v_add_f32_e32 v57, v98, v113
	v_sub_f32_e32 v69, v91, v93
	v_add_f32_e32 v56, v58, v98
	v_mov_b32_e32 v62, v66
	v_fma_f32 v58, -0.5, v57, v58
	v_add_f32_e32 v57, v59, v75
	v_mul_f32_e32 v96, v73, v47
	v_fmac_f32_e32 v66, 0xbf5db3d7, v69
	v_fmac_f32_e32 v62, 0x3f5db3d7, v69
	v_add_f32_e32 v69, v57, v92
	v_add_f32_e32 v57, v75, v92
	v_fmac_f32_e32 v95, v71, v44
	v_fma_f32 v96, v72, v46, -v96
	v_add_f32_e32 v60, v61, v60
	v_add_f32_e32 v61, v63, v93
	v_sub_f32_e32 v71, v75, v92
	v_mov_b32_e32 v63, v67
	v_add_f32_e32 v68, v56, v113
	v_mov_b32_e32 v56, v58
	v_fmac_f32_e32 v59, -0.5, v57
	v_mul_f32_e32 v97, v72, v47
	v_fmac_f32_e32 v67, 0x3f5db3d7, v70
	v_fmac_f32_e32 v63, 0xbf5db3d7, v70
	;; [unrolled: 1-line block ×4, first 2 shown]
	v_sub_f32_e32 v70, v98, v113
	v_mov_b32_e32 v57, v59
	v_add_f32_e32 v71, v94, v96
	v_fmac_f32_e32 v97, v73, v46
	v_fmac_f32_e32 v57, 0xbf5db3d7, v70
	;; [unrolled: 1-line block ×3, first 2 shown]
	v_add_f32_e32 v70, v64, v94
	v_fma_f32 v64, -0.5, v71, v64
	v_sub_f32_e32 v71, v95, v97
	v_mov_b32_e32 v72, v64
	v_add_f32_e32 v73, v95, v97
	v_fmac_f32_e32 v72, 0x3f5db3d7, v71
	v_fmac_f32_e32 v64, 0xbf5db3d7, v71
	v_add_f32_e32 v71, v65, v95
	v_fmac_f32_e32 v65, -0.5, v73
	v_sub_f32_e32 v75, v94, v96
	v_mov_b32_e32 v73, v65
	v_add_f32_e32 v70, v70, v96
	v_add_f32_e32 v71, v71, v97
	v_fmac_f32_e32 v73, 0xbf5db3d7, v75
	v_fmac_f32_e32 v65, 0x3f5db3d7, v75
	ds_write2_b64 v99, v[60:61], v[68:69] offset1:182
	ds_write2_b64 v48, v[66:67], v[58:59] offset0:68 offset1:250
	ds_write2_b64 v49, v[70:71], v[62:63] offset0:44 offset1:226
	;; [unrolled: 1-line block ×3, first 2 shown]
	ds_write_b64 v99, v[64:65] offset:11648
	s_waitcnt lgkmcnt(0)
	s_barrier
	s_and_saveexec_b64 s[6:7], s[0:1]
	s_cbranch_execz .LBB0_17
; %bb.16:
	v_mov_b32_e32 v49, s15
	v_add_co_u32_e32 v95, vcc, s14, v99
	v_addc_co_u32_e32 v49, vcc, 0, v49, vcc
	v_add_co_u32_e32 v74, vcc, 0x3330, v95
	v_addc_co_u32_e32 v75, vcc, 0, v49, vcc
	;; [unrolled: 2-line block ×3, first 2 shown]
	global_load_dwordx2 v[93:94], v[91:92], off offset:816
	global_load_dwordx2 v[125:126], v[74:75], off offset:1008
	;; [unrolled: 1-line block ×5, first 2 shown]
	s_movk_i32 s16, 0x4000
	v_add_co_u32_e32 v74, vcc, s16, v95
	v_addc_co_u32_e32 v75, vcc, 0, v49, vcc
	global_load_dwordx2 v[133:134], v[74:75], off offset:1760
	global_load_dwordx2 v[135:136], v[74:75], off offset:2768
	global_load_dwordx2 v[137:138], v[74:75], off offset:3776
	s_movk_i32 s16, 0x5000
	v_add_co_u32_e32 v74, vcc, s16, v95
	v_addc_co_u32_e32 v75, vcc, 0, v49, vcc
	global_load_dwordx2 v[139:140], v[74:75], off offset:688
	global_load_dwordx2 v[141:142], v[74:75], off offset:1696
	global_load_dwordx2 v[143:144], v[74:75], off offset:2704
	s_nop 0
	global_load_dwordx2 v[74:75], v[74:75], off offset:3712
	v_add_co_u32_e32 v91, vcc, 0x6000, v95
	v_addc_co_u32_e32 v92, vcc, 0, v49, vcc
	global_load_dwordx2 v[145:146], v[91:92], off offset:624
	ds_read_b64 v[91:92], v99
	v_add_u32_e32 v49, 0x800, v99
	v_add_u32_e32 v149, 0x1000, v99
	;; [unrolled: 1-line block ×3, first 2 shown]
	s_waitcnt vmcnt(12) lgkmcnt(0)
	v_mul_f32_e32 v96, v92, v94
	v_mul_f32_e32 v95, v91, v94
	v_fma_f32 v94, v91, v93, -v96
	v_fmac_f32_e32 v95, v92, v93
	ds_write_b64 v99, v[94:95]
	ds_read2_b64 v[91:94], v99 offset0:126 offset1:252
	ds_read2_b64 v[95:98], v49 offset0:122 offset1:248
	;; [unrolled: 1-line block ×5, first 2 shown]
	s_waitcnt vmcnt(11) lgkmcnt(4)
	v_mul_f32_e32 v147, v92, v126
	v_mul_f32_e32 v148, v91, v126
	s_waitcnt vmcnt(10)
	v_mul_f32_e32 v151, v94, v128
	v_mul_f32_e32 v126, v93, v128
	s_waitcnt vmcnt(9) lgkmcnt(3)
	v_mul_f32_e32 v152, v96, v130
	v_mul_f32_e32 v128, v95, v130
	s_waitcnt vmcnt(8)
	v_mul_f32_e32 v153, v98, v132
	v_mul_f32_e32 v130, v97, v132
	;; [unrolled: 6-line block ×4, first 2 shown]
	v_fma_f32 v147, v91, v125, -v147
	v_fmac_f32_e32 v148, v92, v125
	v_fma_f32 v125, v93, v127, -v151
	v_fmac_f32_e32 v126, v94, v127
	;; [unrolled: 2-line block ×8, first 2 shown]
	ds_write2_b64 v99, v[147:148], v[125:126] offset0:126 offset1:252
	ds_write2_b64 v49, v[127:128], v[129:130] offset0:122 offset1:248
	;; [unrolled: 1-line block ×4, first 2 shown]
	v_add_u32_e32 v113, 0x2800, v99
	ds_read2_b64 v[91:94], v113 offset0:106 offset1:232
	s_waitcnt vmcnt(3) lgkmcnt(5)
	v_mul_f32_e32 v140, v122, v142
	v_mul_f32_e32 v96, v121, v142
	s_waitcnt vmcnt(2)
	v_mul_f32_e32 v49, v124, v144
	v_mul_f32_e32 v98, v123, v144
	v_fma_f32 v95, v121, v141, -v140
	v_fmac_f32_e32 v96, v122, v141
	v_fma_f32 v97, v123, v143, -v49
	v_fmac_f32_e32 v98, v124, v143
	ds_write2_b64 v48, v[95:96], v[97:98] offset0:110 offset1:236
	s_waitcnt vmcnt(1) lgkmcnt(1)
	v_mul_f32_e32 v48, v92, v75
	v_mul_f32_e32 v49, v91, v75
	v_fma_f32 v48, v91, v74, -v48
	v_fmac_f32_e32 v49, v92, v74
	s_waitcnt vmcnt(0)
	v_mul_f32_e32 v74, v94, v146
	v_mul_f32_e32 v75, v93, v146
	v_fma_f32 v74, v93, v145, -v74
	v_fmac_f32_e32 v75, v94, v145
	ds_write2_b64 v113, v[48:49], v[74:75] offset0:106 offset1:232
.LBB0_17:
	s_or_b64 exec, exec, s[6:7]
	s_waitcnt lgkmcnt(0)
	s_barrier
	s_and_saveexec_b64 s[6:7], s[0:1]
	s_cbranch_execz .LBB0_19
; %bb.18:
	v_add_u32_e32 v48, 0x400, v99
	ds_read2_b64 v[66:69], v48 offset0:124 offset1:250
	v_add_u32_e32 v48, 0xc00, v99
	ds_read2_b64 v[56:59], v48 offset0:120 offset1:246
	;; [unrolled: 2-line block ×4, first 2 shown]
	v_add_u32_e32 v52, 0x2400, v99
	ds_read2_b64 v[60:63], v99 offset1:126
	ds_read2_b64 v[52:55], v52 offset0:108 offset1:234
	ds_read_b64 v[89:90], v99 offset:12096
	s_waitcnt lgkmcnt(3)
	v_mov_b32_e32 v64, v48
	v_mov_b32_e32 v65, v49
.LBB0_19:
	s_or_b64 exec, exec, s[6:7]
	s_waitcnt lgkmcnt(0)
	v_sub_f32_e32 v140, v63, v90
	v_add_f32_e32 v129, v89, v62
	v_add_f32_e32 v133, v90, v63
	s_mov_b32 s16, 0x3f62ad3f
	v_mul_f32_e32 v48, 0xbeedf032, v140
	v_sub_f32_e32 v155, v67, v55
	v_mul_f32_e32 v49, 0x3f62ad3f, v133
	v_fma_f32 v74, v129, s16, -v48
	s_mov_b32 s17, 0x3f116cb1
	v_add_f32_e32 v143, v54, v66
	v_add_f32_e32 v147, v55, v67
	v_mul_f32_e32 v114, 0xbf52af12, v155
	v_sub_f32_e32 v148, v62, v89
	v_add_f32_e32 v74, v60, v74
	v_mov_b32_e32 v75, v49
	v_mul_f32_e32 v116, 0x3f116cb1, v147
	v_fma_f32 v118, v143, s17, -v114
	v_fmac_f32_e32 v75, 0xbeedf032, v148
	v_sub_f32_e32 v164, v66, v54
	v_add_f32_e32 v74, v118, v74
	v_mov_b32_e32 v118, v116
	v_add_f32_e32 v75, v61, v75
	v_mul_f32_e32 v113, 0xbf52af12, v140
	v_fmac_f32_e32 v118, 0xbf52af12, v164
	v_mul_f32_e32 v115, 0x3f116cb1, v133
	v_fma_f32 v91, v129, s17, -v113
	s_mov_b32 s19, 0xbeb58ec6
	v_add_f32_e32 v75, v118, v75
	v_mul_f32_e32 v118, 0xbf6f5d39, v155
	v_add_f32_e32 v91, v60, v91
	v_mov_b32_e32 v92, v115
	v_mul_f32_e32 v121, 0xbeb58ec6, v147
	v_fma_f32 v120, v143, s19, -v118
	v_fmac_f32_e32 v92, 0xbf52af12, v148
	s_mov_b32 s18, 0x3df6dbef
	v_mul_f32_e32 v117, 0xbf7e222b, v140
	v_add_f32_e32 v91, v120, v91
	v_mov_b32_e32 v120, v121
	v_add_f32_e32 v92, v61, v92
	v_mul_f32_e32 v119, 0x3df6dbef, v133
	v_fma_f32 v93, v129, s18, -v117
	v_fmac_f32_e32 v120, 0xbf6f5d39, v164
	s_mov_b32 s21, 0xbf788fa5
	v_mul_f32_e32 v124, 0xbe750f2a, v155
	v_add_f32_e32 v93, v60, v93
	v_mov_b32_e32 v94, v119
	v_add_f32_e32 v92, v120, v92
	v_mul_f32_e32 v128, 0xbf788fa5, v147
	v_fma_f32 v120, v143, s21, -v124
	v_fmac_f32_e32 v94, 0xbf7e222b, v148
	v_mul_f32_e32 v123, 0xbf6f5d39, v140
	v_add_f32_e32 v93, v120, v93
	v_mov_b32_e32 v120, v128
	v_add_f32_e32 v94, v61, v94
	v_mul_f32_e32 v125, 0xbeb58ec6, v133
	v_fma_f32 v95, v129, s19, -v123
	s_mov_b32 s20, 0xbf3f9e67
	v_fmac_f32_e32 v120, 0xbe750f2a, v164
	v_mul_f32_e32 v134, 0x3f29c268, v155
	v_add_f32_e32 v95, v60, v95
	v_mov_b32_e32 v96, v125
	v_add_f32_e32 v94, v120, v94
	v_mul_f32_e32 v138, 0xbf3f9e67, v147
	v_fma_f32 v120, v143, s20, -v134
	v_fmac_f32_e32 v96, 0xbf6f5d39, v148
	v_mul_f32_e32 v131, 0xbf29c268, v140
	v_add_f32_e32 v95, v120, v95
	v_mov_b32_e32 v120, v138
	v_add_f32_e32 v96, v61, v96
	v_mul_f32_e32 v135, 0xbf3f9e67, v133
	v_fma_f32 v97, v129, s20, -v131
	;; [unrolled: 7-line block ×3, first 2 shown]
	v_fmac_f32_e32 v98, 0xbf29c268, v148
	v_add_f32_e32 v97, v120, v97
	v_mov_b32_e32 v120, v150
	v_add_f32_e32 v98, v61, v98
	v_fmac_f32_e32 v120, 0x3f7e222b, v164
	v_sub_f32_e32 v168, v69, v53
	v_add_f32_e32 v98, v120, v98
	v_add_f32_e32 v157, v52, v68
	v_add_f32_e32 v161, v53, v69
	v_mul_f32_e32 v120, 0xbf7e222b, v168
	v_mul_f32_e32 v122, 0x3df6dbef, v161
	v_fma_f32 v126, v157, s18, -v120
	v_sub_f32_e32 v175, v68, v52
	v_add_f32_e32 v74, v126, v74
	v_mov_b32_e32 v126, v122
	v_fmac_f32_e32 v126, 0xbf7e222b, v175
	v_add_f32_e32 v75, v126, v75
	v_mul_f32_e32 v126, 0xbe750f2a, v168
	v_mul_f32_e32 v130, 0xbf788fa5, v161
	v_fma_f32 v127, v157, s21, -v126
	v_add_f32_e32 v91, v127, v91
	v_mov_b32_e32 v127, v130
	v_fmac_f32_e32 v127, 0xbe750f2a, v175
	v_mul_f32_e32 v136, 0x3f6f5d39, v168
	v_add_f32_e32 v92, v127, v92
	v_mul_f32_e32 v141, 0xbeb58ec6, v161
	v_fma_f32 v127, v157, s19, -v136
	v_add_f32_e32 v93, v127, v93
	v_mov_b32_e32 v127, v141
	v_fmac_f32_e32 v127, 0x3f6f5d39, v175
	v_mul_f32_e32 v146, 0x3eedf032, v168
	v_add_f32_e32 v94, v127, v94
	v_mul_f32_e32 v152, 0x3f62ad3f, v161
	v_fma_f32 v127, v157, s16, -v146
	v_add_f32_e32 v95, v127, v95
	v_mov_b32_e32 v127, v152
	v_fmac_f32_e32 v127, 0x3eedf032, v175
	v_mul_f32_e32 v158, 0xbf52af12, v168
	v_add_f32_e32 v96, v127, v96
	v_mul_f32_e32 v163, 0x3f116cb1, v161
	v_fma_f32 v127, v157, s17, -v158
	v_add_f32_e32 v97, v127, v97
	v_mov_b32_e32 v127, v163
	v_fmac_f32_e32 v127, 0xbf52af12, v175
	v_sub_f32_e32 v179, v57, v51
	v_add_f32_e32 v98, v127, v98
	v_add_f32_e32 v169, v50, v56
	v_add_f32_e32 v173, v51, v57
	v_mul_f32_e32 v127, 0xbf6f5d39, v179
	v_mul_f32_e32 v132, 0xbeb58ec6, v173
	v_fma_f32 v137, v169, s19, -v127
	v_sub_f32_e32 v183, v56, v50
	v_add_f32_e32 v74, v137, v74
	v_mov_b32_e32 v137, v132
	v_fmac_f32_e32 v137, 0xbf6f5d39, v183
	v_add_f32_e32 v75, v137, v75
	v_mul_f32_e32 v137, 0x3f29c268, v179
	v_mul_f32_e32 v142, 0xbf3f9e67, v173
	v_fma_f32 v139, v169, s20, -v137
	v_add_f32_e32 v91, v139, v91
	v_mov_b32_e32 v139, v142
	v_fmac_f32_e32 v139, 0x3f29c268, v183
	v_mul_f32_e32 v149, 0x3eedf032, v179
	v_add_f32_e32 v92, v139, v92
	v_mul_f32_e32 v154, 0x3f62ad3f, v173
	v_fma_f32 v139, v169, s16, -v149
	v_add_f32_e32 v93, v139, v93
	v_mov_b32_e32 v139, v154
	v_fmac_f32_e32 v139, 0x3eedf032, v183
	v_mul_f32_e32 v160, 0xbf7e222b, v179
	v_add_f32_e32 v94, v139, v94
	v_mul_f32_e32 v166, 0x3df6dbef, v173
	v_fma_f32 v139, v169, s18, -v160
	v_add_f32_e32 v95, v139, v95
	v_mov_b32_e32 v139, v166
	v_fmac_f32_e32 v139, 0xbf7e222b, v183
	v_mul_f32_e32 v171, 0x3e750f2a, v179
	v_add_f32_e32 v96, v139, v96
	v_mul_f32_e32 v176, 0xbf788fa5, v173
	v_fma_f32 v139, v169, s21, -v171
	v_add_f32_e32 v97, v139, v97
	v_mov_b32_e32 v139, v176
	;; [unrolled: 39-line block ×3, first 2 shown]
	v_sub_f32_e32 v193, v71, v73
	v_fmac_f32_e32 v97, 0x3eedf032, v190
	v_add_f32_e32 v188, v72, v70
	v_add_f32_e32 v191, v73, v71
	v_mul_f32_e32 v153, 0xbe750f2a, v193
	v_add_f32_e32 v196, v97, v98
	v_mul_f32_e32 v159, 0xbf788fa5, v191
	v_fma_f32 v97, v188, s21, -v153
	v_sub_f32_e32 v194, v70, v72
	v_add_f32_e32 v74, v97, v74
	v_mov_b32_e32 v97, v159
	v_fmac_f32_e32 v97, 0xbe750f2a, v194
	v_mul_f32_e32 v165, 0x3eedf032, v193
	v_add_f32_e32 v75, v97, v75
	v_mul_f32_e32 v170, 0x3f62ad3f, v191
	v_fma_f32 v97, v188, s16, -v165
	v_add_f32_e32 v91, v97, v91
	v_mov_b32_e32 v97, v170
	v_fmac_f32_e32 v97, 0x3eedf032, v194
	v_mul_f32_e32 v174, 0xbf29c268, v193
	v_add_f32_e32 v92, v97, v92
	v_mul_f32_e32 v178, 0xbf3f9e67, v191
	v_fma_f32 v97, v188, s20, -v174
	;; [unrolled: 7-line block ×3, first 2 shown]
	v_add_f32_e32 v97, v97, v95
	v_mov_b32_e32 v95, v186
	v_fmac_f32_e32 v95, 0x3f52af12, v194
	v_mul_f32_e32 v192, 0xbeb58ec6, v191
	v_add_f32_e32 v98, v95, v96
	v_mul_f32_e32 v189, 0xbf6f5d39, v193
	v_mov_b32_e32 v96, v192
	v_fma_f32 v95, v188, s19, -v189
	v_fmac_f32_e32 v96, 0xbf6f5d39, v194
	v_add_f32_e32 v95, v95, v195
	v_add_f32_e32 v96, v96, v196
	s_barrier
	s_and_saveexec_b64 s[6:7], s[0:1]
	s_cbranch_execz .LBB0_21
; %bb.20:
	v_mul_f32_e32 v110, 0x3f62ad3f, v129
	buffer_store_dword v110, off, s[24:27], 0 ; 4-byte Folded Spill
	v_mul_f32_e32 v196, 0xbeedf032, v148
	v_mul_f32_e32 v111, 0xbf52af12, v148
	;; [unrolled: 1-line block ×7, first 2 shown]
	buffer_store_dword v110, off, s[24:27], 0 offset:4 ; 4-byte Folded Spill
	v_mov_b32_e32 v255, v148
	v_mov_b32_e32 v110, v107
	;; [unrolled: 1-line block ×5, first 2 shown]
	v_mul_f32_e32 v101, 0x3eedf032, v164
	v_mul_f32_e32 v206, 0xbf52af12, v164
	;; [unrolled: 1-line block ×6, first 2 shown]
	v_fmac_f32_e32 v255, 0xbf788fa5, v133
	v_mov_b32_e32 v164, v101
	v_mul_f32_e32 v216, 0xbf7e222b, v175
	v_mul_f32_e32 v218, 0xbe750f2a, v175
	;; [unrolled: 1-line block ×5, first 2 shown]
	v_add_f32_e32 v255, v61, v255
	v_fmac_f32_e32 v164, 0x3f62ad3f, v147
	v_mul_f32_e32 v175, 0xbf29c268, v175
	v_add_f32_e32 v164, v164, v255
	v_mov_b32_e32 v255, v175
	v_mul_f32_e32 v226, 0xbf6f5d39, v183
	v_mul_f32_e32 v228, 0x3f29c268, v183
	;; [unrolled: 1-line block ×5, first 2 shown]
	v_fmac_f32_e32 v255, 0xbf3f9e67, v161
	v_mul_f32_e32 v183, 0x3f52af12, v183
	v_add_f32_e32 v164, v255, v164
	v_mov_b32_e32 v255, v183
	v_mul_f32_e32 v236, 0xbf29c268, v190
	v_mul_f32_e32 v238, 0x3f7e222b, v190
	;; [unrolled: 1-line block ×5, first 2 shown]
	v_fmac_f32_e32 v255, 0x3f116cb1, v173
	v_mul_f32_e32 v190, 0xbf6f5d39, v190
	v_add_f32_e32 v164, v255, v164
	v_mov_b32_e32 v255, v190
	v_fmac_f32_e32 v255, 0xbeb58ec6, v184
	v_add_f32_e32 v164, v255, v164
	v_mul_f32_e32 v255, 0x3f7e222b, v194
	v_mul_f32_e32 v246, 0xbe750f2a, v194
	;; [unrolled: 1-line block ×6, first 2 shown]
	v_mov_b32_e32 v194, v255
	v_fmac_f32_e32 v194, 0x3df6dbef, v191
	v_mul_f32_e32 v140, 0xbe750f2a, v140
	v_add_f32_e32 v194, v194, v164
	v_fma_f32 v164, v129, s21, -v140
	v_mul_f32_e32 v155, 0x3eedf032, v155
	v_add_f32_e32 v164, v60, v164
	v_mov_b32_e32 v100, v109
	v_mov_b32_e32 v109, v76
	;; [unrolled: 1-line block ×5, first 2 shown]
	v_fma_f32 v102, v143, s16, -v155
	v_add_f32_e32 v102, v102, v164
	v_mul_f32_e32 v164, 0xbf29c268, v168
	v_fma_f32 v168, v157, s20, -v164
	v_add_f32_e32 v102, v168, v102
	v_mul_f32_e32 v168, 0x3f52af12, v179
	;; [unrolled: 3-line block ×4, first 2 shown]
	v_fma_f32 v193, v188, s18, -v187
	v_add_f32_e32 v193, v193, v102
	v_fma_f32 v102, v133, s21, -v148
	v_add_f32_e32 v102, v61, v102
	;; [unrolled: 2-line block ×6, first 2 shown]
	v_fma_f32 v102, v191, s18, -v255
	v_fmac_f32_e32 v140, 0xbf788fa5, v129
	v_add_f32_e32 v148, v102, v101
	v_add_f32_e32 v101, v60, v140
	v_fmac_f32_e32 v155, 0x3f62ad3f, v143
	v_add_f32_e32 v101, v155, v101
	v_fmac_f32_e32 v164, 0xbf3f9e67, v157
	;; [unrolled: 2-line block ×5, first 2 shown]
	v_add_f32_e32 v147, v187, v101
	v_sub_f32_e32 v101, v135, v204
	v_add_f32_e32 v101, v61, v101
	v_sub_f32_e32 v102, v150, v214
	v_add_f32_e32 v101, v102, v101
	v_sub_f32_e32 v102, v163, v224
	v_add_f32_e32 v101, v102, v101
	v_sub_f32_e32 v102, v176, v234
	v_add_f32_e32 v101, v102, v101
	v_sub_f32_e32 v102, v185, v244
	v_mul_f32_e32 v203, 0xbf3f9e67, v129
	v_add_f32_e32 v101, v102, v101
	v_sub_f32_e32 v102, v192, v254
	v_mul_f32_e32 v213, 0x3df6dbef, v143
	v_add_f32_e32 v164, v102, v101
	v_add_f32_e32 v101, v203, v131
	v_mul_f32_e32 v223, 0x3f116cb1, v157
	v_add_f32_e32 v101, v60, v101
	v_add_f32_e32 v102, v213, v144
	v_mul_f32_e32 v233, 0xbf788fa5, v169
	v_add_f32_e32 v101, v102, v101
	v_add_f32_e32 v102, v223, v158
	v_mul_f32_e32 v243, 0x3f62ad3f, v180
	v_add_f32_e32 v101, v102, v101
	v_add_f32_e32 v102, v233, v171
	v_mul_f32_e32 v253, 0xbeb58ec6, v188
	v_add_f32_e32 v101, v102, v101
	v_add_f32_e32 v102, v243, v181
	v_add_f32_e32 v101, v102, v101
	v_add_f32_e32 v102, v253, v189
	v_add_f32_e32 v163, v102, v101
	v_sub_f32_e32 v101, v125, v202
	v_add_f32_e32 v101, v61, v101
	v_sub_f32_e32 v102, v138, v212
	v_add_f32_e32 v101, v102, v101
	v_sub_f32_e32 v102, v152, v222
	v_add_f32_e32 v101, v102, v101
	v_sub_f32_e32 v102, v166, v232
	v_add_f32_e32 v101, v102, v101
	v_sub_f32_e32 v102, v177, v242
	v_mul_f32_e32 v201, 0xbeb58ec6, v129
	v_add_f32_e32 v101, v102, v101
	v_sub_f32_e32 v102, v186, v252
	v_mul_f32_e32 v211, 0xbf3f9e67, v143
	v_add_f32_e32 v135, v102, v101
	v_add_f32_e32 v101, v201, v123
	v_mul_f32_e32 v221, 0x3f62ad3f, v157
	v_add_f32_e32 v101, v60, v101
	v_add_f32_e32 v102, v211, v134
	v_mul_f32_e32 v231, 0x3df6dbef, v169
	v_add_f32_e32 v101, v102, v101
	v_add_f32_e32 v102, v221, v146
	v_mul_f32_e32 v241, 0xbf788fa5, v180
	v_add_f32_e32 v101, v102, v101
	v_add_f32_e32 v102, v231, v160
	v_mul_f32_e32 v251, 0x3f116cb1, v188
	v_add_f32_e32 v101, v102, v101
	v_add_f32_e32 v102, v241, v172
	v_add_f32_e32 v101, v102, v101
	v_add_f32_e32 v102, v251, v182
	;; [unrolled: 30-line block ×4, first 2 shown]
	v_sub_f32_e32 v49, v49, v196
	v_add_f32_e32 v118, v102, v101
	v_add_f32_e32 v49, v61, v49
	v_sub_f32_e32 v101, v116, v206
	v_add_f32_e32 v49, v101, v49
	v_sub_f32_e32 v101, v122, v216
	;; [unrolled: 2-line block ×5, first 2 shown]
	v_add_f32_e32 v49, v101, v49
	buffer_load_dword v101, off, s[24:27], 0 ; 4-byte Folded Reload
	v_add_f32_e32 v61, v63, v61
	v_add_f32_e32 v61, v67, v61
	;; [unrolled: 1-line block ×16, first 2 shown]
	v_mul_f32_e32 v195, 0x3df6dbef, v157
	v_add_f32_e32 v53, v72, v53
	v_mul_f32_e32 v225, 0xbeb58ec6, v169
	v_add_f32_e32 v53, v64, v53
	;; [unrolled: 2-line block ×4, first 2 shown]
	v_add_f32_e32 v51, v55, v51
	v_add_f32_e32 v50, v54, v50
	v_mov_b32_e32 v102, v104
	v_mov_b32_e32 v104, v106
	;; [unrolled: 1-line block ×5, first 2 shown]
	v_add_f32_e32 v51, v90, v51
	v_add_f32_e32 v50, v89, v50
	v_lshlrev_b32_e32 v52, 3, v103
	v_mov_b32_e32 v103, v105
	v_mov_b32_e32 v105, v107
	;; [unrolled: 1-line block ×3, first 2 shown]
	s_waitcnt vmcnt(0)
	v_add_f32_e32 v48, v101, v48
	buffer_load_dword v101, off, s[24:27], 0 offset:4 ; 4-byte Folded Reload
	v_add_f32_e32 v48, v60, v48
	s_waitcnt vmcnt(0)
	v_add_f32_e32 v101, v101, v114
	v_add_f32_e32 v48, v101, v48
	v_add_f32_e32 v101, v195, v120
	v_add_f32_e32 v48, v101, v48
	v_add_f32_e32 v101, v225, v127
	v_add_f32_e32 v48, v101, v48
	v_add_f32_e32 v101, v235, v139
	v_add_f32_e32 v48, v101, v48
	v_add_f32_e32 v101, v245, v153
	v_add_f32_e32 v48, v101, v48
	ds_write2_b64 v52, v[50:51], v[48:49] offset1:1
	ds_write2_b64 v52, v[118:119], v[124:125] offset0:2 offset1:3
	ds_write2_b64 v52, v[134:135], v[163:164] offset0:4 offset1:5
	;; [unrolled: 1-line block ×5, first 2 shown]
	ds_write_b64 v52, v[74:75] offset:96
.LBB0_21:
	s_or_b64 exec, exec, s[6:7]
	v_add_u32_e32 v52, 0x1800, v99
	s_waitcnt lgkmcnt(0)
	s_barrier
	ds_read2_b64 v[60:63], v52 offset0:51 offset1:233
	v_add_u32_e32 v52, 0xa00, v99
	v_add_u32_e32 v56, 0x2400, v99
	ds_read2_b64 v[48:51], v99 offset1:182
	ds_read2_b64 v[52:55], v52 offset0:44 offset1:226
	ds_read2_b64 v[56:59], v56 offset0:31 offset1:213
	s_and_saveexec_b64 s[6:7], s[2:3]
	s_cbranch_execz .LBB0_23
; %bb.22:
	ds_read_b64 v[95:96], v99 offset:5824
	ds_read_b64 v[97:98], v99 offset:12376
.LBB0_23:
	s_or_b64 exec, exec, s[6:7]
	s_waitcnt lgkmcnt(3)
	v_mul_f32_e32 v64, v86, v61
	v_fmac_f32_e32 v64, v85, v60
	v_mul_f32_e32 v60, v86, v60
	v_fma_f32 v60, v85, v61, -v60
	v_mul_f32_e32 v61, v82, v63
	v_fmac_f32_e32 v61, v81, v62
	v_mul_f32_e32 v62, v82, v62
	v_fma_f32 v62, v81, v63, -v62
	s_waitcnt lgkmcnt(0)
	v_mul_f32_e32 v63, v80, v57
	v_fmac_f32_e32 v63, v79, v56
	v_mul_f32_e32 v56, v80, v56
	v_fma_f32 v65, v79, v57, -v56
	v_mul_f32_e32 v56, v84, v58
	v_mul_f32_e32 v66, v84, v59
	v_fma_f32 v67, v83, v59, -v56
	v_mul_f32_e32 v68, v78, v98
	v_mul_f32_e32 v56, v78, v97
	v_fmac_f32_e32 v66, v83, v58
	v_fmac_f32_e32 v68, v77, v97
	v_fma_f32 v69, v77, v98, -v56
	v_sub_f32_e32 v56, v48, v64
	v_sub_f32_e32 v57, v49, v60
	v_fma_f32 v58, v48, 2.0, -v56
	v_fma_f32 v59, v49, 2.0, -v57
	v_sub_f32_e32 v60, v50, v61
	v_sub_f32_e32 v61, v51, v62
	;; [unrolled: 1-line block ×8, first 2 shown]
	v_fma_f32 v50, v50, 2.0, -v60
	v_fma_f32 v51, v51, 2.0, -v61
	;; [unrolled: 1-line block ×6, first 2 shown]
	s_barrier
	ds_write2_b64 v104, v[58:59], v[56:57] offset1:13
	ds_write2_b64 v105, v[50:51], v[60:61] offset1:13
	;; [unrolled: 1-line block ×4, first 2 shown]
	s_and_saveexec_b64 s[6:7], s[2:3]
	s_cbranch_execz .LBB0_25
; %bb.24:
	v_mad_legacy_u16 v52, v102, 26, v103
	v_fma_f32 v51, v96, 2.0, -v49
	v_fma_f32 v50, v95, 2.0, -v48
	v_lshlrev_b32_e32 v52, 3, v52
	ds_write2_b64 v52, v[50:51], v[48:49] offset1:13
.LBB0_25:
	s_or_b64 exec, exec, s[6:7]
	v_add_u32_e32 v50, 0xa00, v99
	s_waitcnt lgkmcnt(0)
	s_barrier
	ds_read2_b64 v[50:53], v50 offset0:44 offset1:226
	v_add_u32_e32 v58, 0x2000, v99
	ds_read2_b64 v[58:61], v58 offset0:68 offset1:250
	v_add_u32_e32 v62, 0x1600, v99
	ds_read2_b64 v[54:57], v99 offset1:182
	ds_read2_b64 v[62:65], v62 offset0:24 offset1:206
	ds_read_b64 v[66:67], v99 offset:11648
	s_waitcnt lgkmcnt(4)
	v_mul_f32_e32 v68, v13, v53
	v_mul_f32_e32 v13, v13, v52
	v_fmac_f32_e32 v68, v12, v52
	v_fma_f32 v12, v12, v53, -v13
	s_waitcnt lgkmcnt(3)
	v_mul_f32_e32 v13, v15, v59
	v_mul_f32_e32 v15, v15, v58
	v_fmac_f32_e32 v13, v14, v58
	v_fma_f32 v52, v14, v59, -v15
	s_waitcnt lgkmcnt(1)
	v_mul_f32_e32 v14, v21, v62
	v_fma_f32 v58, v20, v63, -v14
	v_mul_f32_e32 v59, v23, v61
	v_mul_f32_e32 v14, v23, v60
	;; [unrolled: 1-line block ×3, first 2 shown]
	v_fmac_f32_e32 v59, v22, v60
	v_fma_f32 v23, v22, v61, -v14
	v_mul_f32_e32 v60, v17, v65
	v_mul_f32_e32 v14, v17, v64
	v_add_f32_e32 v15, v68, v13
	v_fmac_f32_e32 v53, v20, v62
	v_fmac_f32_e32 v60, v16, v64
	v_fma_f32 v61, v16, v65, -v14
	s_waitcnt lgkmcnt(0)
	v_mul_f32_e32 v62, v19, v67
	v_mul_f32_e32 v14, v19, v66
	v_fma_f32 v16, -0.5, v15, v54
	v_fmac_f32_e32 v62, v18, v66
	v_fma_f32 v63, v18, v67, -v14
	v_sub_f32_e32 v15, v12, v52
	v_mov_b32_e32 v18, v16
	v_fmac_f32_e32 v18, 0xbf5db3d7, v15
	v_fmac_f32_e32 v16, 0x3f5db3d7, v15
	v_add_f32_e32 v15, v55, v12
	v_add_f32_e32 v12, v12, v52
	v_fma_f32 v17, -0.5, v12, v55
	v_sub_f32_e32 v12, v68, v13
	v_mov_b32_e32 v19, v17
	v_fmac_f32_e32 v19, 0x3f5db3d7, v12
	v_fmac_f32_e32 v17, 0xbf5db3d7, v12
	v_add_f32_e32 v12, v56, v53
	v_add_f32_e32 v20, v12, v59
	;; [unrolled: 1-line block ×3, first 2 shown]
	v_fma_f32 v56, -0.5, v12, v56
	v_sub_f32_e32 v12, v58, v23
	v_mov_b32_e32 v22, v56
	v_fmac_f32_e32 v22, 0xbf5db3d7, v12
	v_fmac_f32_e32 v56, 0x3f5db3d7, v12
	v_add_f32_e32 v12, v57, v58
	v_add_f32_e32 v21, v12, v23
	;; [unrolled: 1-line block ×3, first 2 shown]
	v_fmac_f32_e32 v57, -0.5, v12
	v_sub_f32_e32 v12, v53, v59
	v_mov_b32_e32 v23, v57
	v_fmac_f32_e32 v23, 0x3f5db3d7, v12
	v_fmac_f32_e32 v57, 0xbf5db3d7, v12
	v_add_f32_e32 v12, v50, v60
	v_add_f32_e32 v15, v15, v52
	;; [unrolled: 1-line block ×5, first 2 shown]
	v_fma_f32 v50, -0.5, v12, v50
	v_add_f32_e32 v14, v14, v13
	v_sub_f32_e32 v13, v61, v63
	v_mov_b32_e32 v12, v50
	v_fmac_f32_e32 v12, 0xbf5db3d7, v13
	v_fmac_f32_e32 v50, 0x3f5db3d7, v13
	v_add_f32_e32 v13, v51, v61
	v_add_f32_e32 v53, v13, v63
	;; [unrolled: 1-line block ×3, first 2 shown]
	v_fmac_f32_e32 v51, -0.5, v13
	v_sub_f32_e32 v54, v60, v62
	v_mov_b32_e32 v13, v51
	v_fmac_f32_e32 v13, 0x3f5db3d7, v54
	v_fmac_f32_e32 v51, 0xbf5db3d7, v54
	s_barrier
	ds_write2_b64 v107, v[14:15], v[18:19] offset1:26
	ds_write_b64 v107, v[16:17] offset:416
	ds_write2_b64 v108, v[20:21], v[22:23] offset1:26
	ds_write_b64 v108, v[56:57] offset:416
	;; [unrolled: 2-line block ×3, first 2 shown]
	v_add_u32_e32 v14, 0xe00, v99
	s_waitcnt lgkmcnt(0)
	s_barrier
	ds_read2_b64 v[52:55], v14 offset0:20 offset1:254
	v_add_u32_e32 v14, 0x1d00, v99
	ds_read2_b64 v[16:19], v99 offset1:234
	ds_read2_b64 v[20:23], v14 offset0:8 offset1:242
	ds_read_b64 v[56:57], v99 offset:11232
	s_and_saveexec_b64 s[2:3], s[4:5]
	s_cbranch_execz .LBB0_27
; %bb.26:
	v_add_u32_e32 v13, 0x1400, v99
	v_add_u32_e32 v12, 0x580, v99
	ds_read2_b64 v[48:51], v13 offset0:10 offset1:244
	v_add_u32_e32 v13, 0x2280, v99
	ds_read2_b64 v[72:75], v13 offset0:14 offset1:248
	ds_read2_b64 v[12:15], v12 offset0:6 offset1:240
	ds_read_b64 v[87:88], v99 offset:12688
	s_waitcnt lgkmcnt(2)
	v_mov_b32_e32 v91, v72
	v_mov_b32_e32 v93, v50
	;; [unrolled: 1-line block ×4, first 2 shown]
	s_waitcnt lgkmcnt(1)
	v_mov_b32_e32 v50, v14
	v_mov_b32_e32 v51, v15
.LBB0_27:
	s_or_b64 exec, exec, s[2:3]
	s_waitcnt lgkmcnt(2)
	v_mul_f32_e32 v14, v33, v19
	v_mul_f32_e32 v15, v33, v18
	v_fmac_f32_e32 v14, v32, v18
	v_fma_f32 v15, v32, v19, -v15
	v_mul_f32_e32 v32, v29, v55
	v_mul_f32_e32 v29, v29, v54
	v_fmac_f32_e32 v32, v28, v54
	v_fma_f32 v28, v28, v55, -v29
	s_waitcnt lgkmcnt(1)
	v_mul_f32_e32 v29, v31, v21
	v_fmac_f32_e32 v29, v30, v20
	v_mul_f32_e32 v20, v31, v20
	v_fma_f32 v20, v30, v21, -v20
	v_mul_f32_e32 v21, v25, v23
	v_fmac_f32_e32 v21, v24, v22
	v_mul_f32_e32 v22, v25, v22
	v_mul_f32_e32 v18, v35, v53
	v_fma_f32 v22, v24, v23, -v22
	s_waitcnt lgkmcnt(0)
	v_mul_f32_e32 v23, v27, v57
	v_fmac_f32_e32 v18, v34, v52
	v_mul_f32_e32 v19, v35, v52
	v_fmac_f32_e32 v23, v26, v56
	v_mul_f32_e32 v24, v27, v56
	v_fma_f32 v19, v34, v53, -v19
	v_fma_f32 v24, v26, v57, -v24
	v_add_f32_e32 v25, v14, v23
	v_sub_f32_e32 v14, v14, v23
	v_add_f32_e32 v23, v18, v21
	v_add_f32_e32 v26, v15, v24
	v_sub_f32_e32 v15, v15, v24
	v_add_f32_e32 v24, v19, v22
	v_sub_f32_e32 v18, v18, v21
	v_sub_f32_e32 v19, v19, v22
	v_add_f32_e32 v21, v32, v29
	v_add_f32_e32 v22, v28, v20
	v_sub_f32_e32 v27, v29, v32
	v_sub_f32_e32 v20, v20, v28
	v_add_f32_e32 v28, v23, v25
	v_add_f32_e32 v29, v24, v26
	v_sub_f32_e32 v30, v23, v25
	v_sub_f32_e32 v25, v25, v21
	;; [unrolled: 1-line block ×3, first 2 shown]
	v_add_f32_e32 v32, v27, v18
	v_add_f32_e32 v21, v21, v28
	v_sub_f32_e32 v31, v24, v26
	v_sub_f32_e32 v26, v26, v22
	;; [unrolled: 1-line block ×3, first 2 shown]
	v_add_f32_e32 v33, v20, v19
	v_sub_f32_e32 v34, v27, v18
	v_sub_f32_e32 v27, v14, v27
	;; [unrolled: 1-line block ×3, first 2 shown]
	v_add_f32_e32 v22, v22, v29
	v_add_f32_e32 v28, v32, v14
	;; [unrolled: 1-line block ×3, first 2 shown]
	v_sub_f32_e32 v35, v20, v19
	v_sub_f32_e32 v20, v15, v20
	v_sub_f32_e32 v19, v19, v15
	v_add_f32_e32 v29, v33, v15
	v_add_f32_e32 v15, v17, v22
	v_mov_b32_e32 v52, v14
	v_mul_f32_e32 v16, 0x3f4a47b2, v25
	v_mul_f32_e32 v17, 0x3f4a47b2, v26
	;; [unrolled: 1-line block ×6, first 2 shown]
	s_mov_b32 s6, 0xbf5ff5aa
	v_fmac_f32_e32 v52, 0xbf955555, v21
	v_mov_b32_e32 v21, v15
	s_mov_b32 s7, 0x3f3bfb3b
	s_mov_b32 s16, 0xbf3bfb3b
	v_mul_f32_e32 v34, 0xbf5ff5aa, v18
	v_mul_f32_e32 v35, 0xbf5ff5aa, v19
	v_fmac_f32_e32 v21, 0xbf955555, v22
	v_fma_f32 v22, v30, s7, -v25
	v_fma_f32 v25, v31, s7, -v26
	;; [unrolled: 1-line block ×3, first 2 shown]
	v_fmac_f32_e32 v16, 0x3d64c772, v23
	v_fma_f32 v23, v31, s16, -v17
	v_fmac_f32_e32 v17, 0x3d64c772, v24
	v_fma_f32 v24, v18, s6, -v32
	;; [unrolled: 2-line block ×3, first 2 shown]
	v_fmac_f32_e32 v33, 0xbeae86e6, v20
	s_mov_b32 s17, 0x3eae86e6
	v_fma_f32 v27, v27, s17, -v34
	v_fma_f32 v31, v20, s17, -v35
	v_add_f32_e32 v34, v16, v52
	v_add_f32_e32 v35, v17, v21
	v_fmac_f32_e32 v32, 0xbee1c552, v28
	v_fmac_f32_e32 v33, 0xbee1c552, v29
	v_add_f32_e32 v22, v22, v52
	v_add_f32_e32 v25, v25, v21
	;; [unrolled: 1-line block ×4, first 2 shown]
	v_fmac_f32_e32 v24, 0xbee1c552, v28
	v_fmac_f32_e32 v30, 0xbee1c552, v29
	v_fmac_f32_e32 v27, 0xbee1c552, v28
	v_fmac_f32_e32 v31, 0xbee1c552, v29
	v_add_f32_e32 v16, v33, v34
	v_sub_f32_e32 v17, v35, v32
	v_add_f32_e32 v18, v31, v26
	v_sub_f32_e32 v19, v52, v27
	v_sub_f32_e32 v20, v22, v30
	v_add_f32_e32 v21, v24, v25
	v_add_f32_e32 v22, v30, v22
	v_sub_f32_e32 v23, v25, v24
	v_sub_f32_e32 v24, v26, v31
	v_add_f32_e32 v25, v27, v52
	s_barrier
	ds_write2_b64 v112, v[14:15], v[16:17] offset1:78
	ds_write2_b64 v112, v[18:19], v[20:21] offset0:156 offset1:234
	v_add_u32_e32 v14, 0x800, v112
	v_sub_f32_e32 v26, v34, v33
	v_add_f32_e32 v27, v32, v35
	ds_write2_b64 v14, v[22:23], v[24:25] offset0:56 offset1:134
	ds_write_b64 v112, v[26:27] offset:3744
	s_and_saveexec_b64 s[2:3], s[4:5]
	s_cbranch_execz .LBB0_29
; %bb.28:
	v_mul_f32_e32 v15, v3, v88
	v_mul_f32_e32 v3, v3, v87
	;; [unrolled: 1-line block ×3, first 2 shown]
	v_fmac_f32_e32 v15, v2, v87
	v_fma_f32 v2, v2, v88, -v3
	v_mul_f32_e32 v3, v9, v50
	v_fmac_f32_e32 v14, v8, v50
	v_mul_f32_e32 v18, v5, v94
	v_fma_f32 v8, v8, v51, -v3
	v_mul_f32_e32 v3, v5, v93
	v_fmac_f32_e32 v18, v4, v93
	v_fma_f32 v4, v4, v94, -v3
	v_mul_f32_e32 v3, v7, v91
	v_mul_f32_e32 v22, v1, v75
	v_fma_f32 v5, v6, v92, -v3
	v_mul_f32_e32 v1, v1, v74
	v_mul_f32_e32 v17, v7, v92
	;; [unrolled: 1-line block ×3, first 2 shown]
	v_fmac_f32_e32 v22, v0, v74
	v_add_f32_e32 v9, v2, v8
	v_add_f32_e32 v3, v4, v5
	v_fma_f32 v7, v0, v75, -v1
	v_mul_f32_e32 v0, v11, v48
	v_fmac_f32_e32 v17, v6, v91
	v_fmac_f32_e32 v21, v10, v48
	v_sub_f32_e32 v6, v9, v3
	v_fma_f32 v10, v10, v49, -v0
	v_mul_f32_e32 v6, 0x3f4a47b2, v6
	v_add_f32_e32 v11, v7, v10
	v_sub_f32_e32 v0, v3, v11
	v_mov_b32_e32 v27, v6
	v_mul_f32_e32 v26, 0x3d64c772, v0
	v_fmac_f32_e32 v27, 0x3d64c772, v0
	v_add_f32_e32 v0, v11, v9
	v_add_f32_e32 v0, v3, v0
	;; [unrolled: 1-line block ×3, first 2 shown]
	v_mov_b32_e32 v13, v1
	v_sub_f32_e32 v16, v14, v15
	v_fmac_f32_e32 v13, 0xbf955555, v0
	v_add_f32_e32 v14, v15, v14
	v_add_f32_e32 v0, v18, v17
	v_sub_f32_e32 v15, v14, v0
	v_sub_f32_e32 v19, v17, v18
	v_mul_f32_e32 v15, 0x3f4a47b2, v15
	v_add_f32_e32 v17, v22, v21
	v_sub_f32_e32 v23, v21, v22
	v_sub_f32_e32 v18, v0, v17
	v_mov_b32_e32 v22, v15
	v_mul_f32_e32 v21, 0x3d64c772, v18
	v_fmac_f32_e32 v22, 0x3d64c772, v18
	v_add_f32_e32 v18, v17, v14
	v_sub_f32_e32 v20, v16, v19
	v_sub_f32_e32 v24, v19, v23
	v_add_f32_e32 v19, v19, v23
	v_add_f32_e32 v18, v0, v18
	v_sub_f32_e32 v8, v8, v2
	v_sub_f32_e32 v2, v5, v4
	;; [unrolled: 1-line block ×3, first 2 shown]
	v_mul_f32_e32 v24, 0x3f08b237, v24
	v_add_f32_e32 v19, v19, v16
	v_add_f32_e32 v0, v12, v18
	v_sub_f32_e32 v4, v8, v2
	v_sub_f32_e32 v5, v2, v7
	v_add_f32_e32 v2, v2, v7
	v_sub_f32_e32 v16, v23, v16
	v_mov_b32_e32 v25, v24
	v_mov_b32_e32 v12, v0
	v_mul_f32_e32 v10, 0x3f08b237, v5
	v_add_f32_e32 v28, v2, v8
	v_mul_f32_e32 v5, 0xbf5ff5aa, v16
	v_sub_f32_e32 v9, v11, v9
	v_sub_f32_e32 v8, v7, v8
	v_fmac_f32_e32 v25, 0xbeae86e6, v20
	v_fmac_f32_e32 v12, 0xbf955555, v18
	v_fma_f32 v20, v20, s17, -v5
	v_fma_f32 v5, v9, s16, -v6
	v_sub_f32_e32 v6, v17, v14
	v_mul_f32_e32 v7, 0xbf5ff5aa, v8
	v_add_f32_e32 v18, v22, v12
	v_mov_b32_e32 v22, v10
	v_fma_f32 v14, v6, s16, -v15
	v_fma_f32 v15, v4, s17, -v7
	;; [unrolled: 1-line block ×3, first 2 shown]
	v_add_f32_e32 v27, v27, v13
	v_fmac_f32_e32 v22, 0xbeae86e6, v4
	v_add_f32_e32 v11, v5, v13
	v_add_f32_e32 v9, v7, v13
	v_fma_f32 v13, v16, s6, -v24
	v_fma_f32 v8, v8, s6, -v10
	;; [unrolled: 1-line block ×3, first 2 shown]
	v_fmac_f32_e32 v25, 0xbee1c552, v19
	v_fmac_f32_e32 v22, 0xbee1c552, v28
	v_add_f32_e32 v14, v14, v12
	v_fmac_f32_e32 v15, 0xbee1c552, v28
	v_fmac_f32_e32 v13, 0xbee1c552, v19
	;; [unrolled: 1-line block ×3, first 2 shown]
	v_add_f32_e32 v10, v6, v12
	v_fmac_f32_e32 v20, 0xbee1c552, v19
	v_sub_f32_e32 v4, v14, v15
	v_sub_f32_e32 v7, v9, v13
	v_add_f32_e32 v6, v8, v10
	v_add_f32_e32 v9, v13, v9
	v_sub_f32_e32 v8, v10, v8
	v_add_f32_e32 v10, v15, v14
	v_sub_f32_e32 v13, v27, v25
	v_add_f32_e32 v12, v22, v18
	v_add_u32_e32 v14, 0x2000, v205
	v_add_f32_e32 v5, v20, v11
	v_sub_f32_e32 v11, v11, v20
	ds_write2_b64 v14, v[0:1], v[12:13] offset0:68 offset1:146
	v_add_u32_e32 v0, 0x2400, v205
	ds_write2_b64 v0, v[10:11], v[8:9] offset0:96 offset1:174
	v_add_u32_e32 v0, 0x2800, v205
	v_add_f32_e32 v3, v25, v27
	v_sub_f32_e32 v2, v18, v22
	ds_write2_b64 v0, v[6:7], v[4:5] offset0:124 offset1:202
	ds_write_b64 v205, v[2:3] offset:12480
.LBB0_29:
	s_or_b64 exec, exec, s[2:3]
	v_add_u32_e32 v19, 0xa00, v99
	s_waitcnt lgkmcnt(0)
	s_barrier
	ds_read2_b64 v[5:8], v19 offset0:44 offset1:226
	v_add_u32_e32 v0, 0x2000, v99
	ds_read2_b64 v[9:12], v0 offset0:68 offset1:250
	v_add_u32_e32 v20, 0x1600, v99
	ds_read2_b64 v[1:4], v99 offset1:182
	ds_read2_b64 v[13:16], v20 offset0:24 offset1:206
	ds_read_b64 v[17:18], v99 offset:11648
	s_waitcnt lgkmcnt(4)
	v_mul_f32_e32 v21, v37, v8
	v_fmac_f32_e32 v21, v36, v7
	v_mul_f32_e32 v7, v37, v7
	v_fma_f32 v22, v36, v8, -v7
	s_waitcnt lgkmcnt(3)
	v_mul_f32_e32 v7, v39, v9
	v_mul_f32_e32 v23, v39, v10
	v_fma_f32 v10, v38, v10, -v7
	s_waitcnt lgkmcnt(1)
	v_mul_f32_e32 v7, v41, v13
	v_mul_f32_e32 v24, v41, v14
	v_fma_f32 v14, v40, v14, -v7
	v_mul_f32_e32 v7, v43, v11
	v_fmac_f32_e32 v23, v38, v9
	v_fma_f32 v26, v42, v12, -v7
	v_mul_f32_e32 v7, v45, v15
	v_fma_f32 v28, v44, v16, -v7
	s_waitcnt lgkmcnt(0)
	v_mul_f32_e32 v7, v47, v17
	v_add_f32_e32 v8, v21, v23
	v_mul_f32_e32 v29, v47, v18
	v_fma_f32 v18, v46, v18, -v7
	v_add_f32_e32 v7, v1, v21
	v_fma_f32 v1, -0.5, v8, v1
	v_sub_f32_e32 v8, v22, v10
	v_mov_b32_e32 v9, v1
	v_fmac_f32_e32 v9, 0xbf5db3d7, v8
	v_fmac_f32_e32 v1, 0x3f5db3d7, v8
	v_add_f32_e32 v8, v2, v22
	v_mul_f32_e32 v25, v43, v12
	v_add_f32_e32 v8, v8, v10
	v_add_f32_e32 v10, v22, v10
	v_fmac_f32_e32 v24, v40, v13
	v_fmac_f32_e32 v25, v42, v11
	v_fma_f32 v2, -0.5, v10, v2
	v_sub_f32_e32 v11, v21, v23
	v_mov_b32_e32 v10, v2
	v_add_f32_e32 v12, v24, v25
	v_fmac_f32_e32 v10, 0x3f5db3d7, v11
	v_fmac_f32_e32 v2, 0xbf5db3d7, v11
	v_add_f32_e32 v11, v3, v24
	v_fma_f32 v3, -0.5, v12, v3
	v_sub_f32_e32 v12, v14, v26
	v_mov_b32_e32 v13, v3
	v_mul_f32_e32 v27, v45, v16
	v_fmac_f32_e32 v13, 0xbf5db3d7, v12
	v_fmac_f32_e32 v3, 0x3f5db3d7, v12
	v_add_f32_e32 v12, v4, v14
	v_add_f32_e32 v14, v14, v26
	v_fmac_f32_e32 v27, v44, v15
	v_fmac_f32_e32 v29, v46, v17
	v_fmac_f32_e32 v4, -0.5, v14
	v_sub_f32_e32 v15, v24, v25
	v_mov_b32_e32 v14, v4
	v_add_f32_e32 v16, v27, v29
	v_fmac_f32_e32 v14, 0x3f5db3d7, v15
	v_fmac_f32_e32 v4, 0xbf5db3d7, v15
	v_add_f32_e32 v15, v5, v27
	v_fma_f32 v5, -0.5, v16, v5
	v_sub_f32_e32 v16, v28, v18
	v_mov_b32_e32 v17, v5
	v_fmac_f32_e32 v17, 0xbf5db3d7, v16
	v_fmac_f32_e32 v5, 0x3f5db3d7, v16
	v_add_f32_e32 v16, v6, v28
	v_add_f32_e32 v16, v16, v18
	v_add_f32_e32 v18, v28, v18
	v_fmac_f32_e32 v6, -0.5, v18
	s_movk_i32 s2, 0x2000
	v_add_f32_e32 v7, v7, v23
	v_add_f32_e32 v11, v11, v25
	;; [unrolled: 1-line block ×3, first 2 shown]
	v_sub_f32_e32 v21, v27, v29
	v_mov_b32_e32 v18, v6
	v_add_f32_e32 v15, v15, v29
	v_fmac_f32_e32 v18, 0x3f5db3d7, v21
	v_fmac_f32_e32 v6, 0xbf5db3d7, v21
	ds_write2_b64 v99, v[7:8], v[11:12] offset1:182
	ds_write2_b64 v0, v[1:2], v[3:4] offset0:68 offset1:250
	ds_write2_b64 v19, v[15:16], v[9:10] offset0:44 offset1:226
	;; [unrolled: 1-line block ×3, first 2 shown]
	ds_write_b64 v99, v[5:6] offset:11648
	s_waitcnt lgkmcnt(0)
	s_barrier
	s_and_b64 exec, exec, s[0:1]
	s_cbranch_execz .LBB0_31
; %bb.30:
	global_load_dwordx2 v[9:10], v99, s[14:15]
	global_load_dwordx2 v[11:12], v99, s[14:15] offset:1008
	global_load_dwordx2 v[13:14], v99, s[14:15] offset:2016
	;; [unrolled: 1-line block ×3, first 2 shown]
	ds_read_b64 v[17:18], v99
	global_load_dwordx2 v[23:24], v99, s[14:15] offset:4032
	v_mad_u64_u32 v[19:20], s[0:1], s10, v197, 0
	v_mad_u64_u32 v[21:22], s[4:5], s8, v215, 0
	v_mov_b32_e32 v5, s15
	v_add_co_u32_e32 v36, vcc, s14, v99
	s_movk_i32 s6, 0x1000
	v_addc_co_u32_e32 v37, vcc, 0, v5, vcc
	v_add_co_u32_e32 v25, vcc, s6, v36
	v_mad_u64_u32 v[27:28], s[6:7], s11, v197, v[20:21]
	v_add_u32_e32 v6, 0x800, v99
	v_addc_co_u32_e32 v26, vcc, 0, v37, vcc
	ds_read2_b64 v[1:4], v99 offset0:126 offset1:252
	ds_read2_b64 v[5:8], v6 offset0:122 offset1:248
	v_mov_b32_e32 v20, v27
	v_lshlrev_b64 v[19:20], 3, v[19:20]
	v_mov_b32_e32 v35, s13
	v_add_co_u32_e32 v19, vcc, s12, v19
	v_addc_co_u32_e32 v20, vcc, v35, v20, vcc
	s_mul_i32 s4, s9, 0x3f0
	s_mul_hi_u32 s5, s8, 0x3f0
	s_mul_i32 s3, s8, 0x3f0
	s_add_i32 s4, s5, s4
	v_mov_b32_e32 v38, s4
	s_mov_b32 s0, 0x14014014
	s_mov_b32 s1, 0x3f440140
	v_mov_b32_e32 v39, s4
	s_waitcnt vmcnt(4) lgkmcnt(2)
	v_mul_f32_e32 v27, v18, v10
	v_mul_f32_e32 v10, v17, v10
	s_waitcnt vmcnt(2) lgkmcnt(1)
	v_mul_f32_e32 v35, v4, v14
	v_mul_f32_e32 v14, v3, v14
	v_fmac_f32_e32 v27, v17, v9
	s_waitcnt vmcnt(0)
	v_mad_u64_u32 v[28:29], s[6:7], s9, v215, v[22:23]
	global_load_dwordx2 v[29:30], v[25:26], off offset:944
	global_load_dwordx2 v[31:32], v[25:26], off offset:1952
	;; [unrolled: 1-line block ×3, first 2 shown]
	v_fma_f32 v9, v9, v18, -v10
	v_mov_b32_e32 v22, v28
	v_lshlrev_b64 v[21:22], 3, v[21:22]
	v_mul_f32_e32 v28, v2, v12
	v_add_co_u32_e32 v19, vcc, v19, v21
	v_addc_co_u32_e32 v20, vcc, v20, v22, vcc
	v_add_co_u32_e32 v21, vcc, s3, v19
	v_mul_f32_e32 v12, v1, v12
	v_addc_co_u32_e32 v22, vcc, v20, v38, vcc
	s_waitcnt lgkmcnt(0)
	v_mul_f32_e32 v38, v6, v16
	v_mul_f32_e32 v16, v5, v16
	v_fmac_f32_e32 v28, v1, v11
	v_fma_f32 v10, v11, v2, -v12
	v_fmac_f32_e32 v35, v3, v13
	v_fma_f32 v13, v13, v4, -v14
	v_cvt_f64_f32_e32 v[1:2], v27
	v_cvt_f64_f32_e32 v[3:4], v9
	v_fmac_f32_e32 v38, v5, v15
	v_fma_f32 v17, v15, v6, -v16
	v_cvt_f64_f32_e32 v[5:6], v28
	v_cvt_f64_f32_e32 v[9:10], v10
	v_mul_f64 v[1:2], v[1:2], s[0:1]
	v_mul_f64 v[3:4], v[3:4], s[0:1]
	v_cvt_f64_f32_e32 v[11:12], v35
	v_mul_f64 v[5:6], v[5:6], s[0:1]
	v_mul_f64 v[9:10], v[9:10], s[0:1]
	v_cvt_f64_f32_e32 v[13:14], v13
	v_mul_f64 v[11:12], v[11:12], s[0:1]
	v_cvt_f64_f32_e32 v[15:16], v38
	v_cvt_f32_f64_e32 v1, v[1:2]
	v_mul_f64 v[13:14], v[13:14], s[0:1]
	v_cvt_f32_f64_e32 v2, v[3:4]
	v_cvt_f32_f64_e32 v3, v[5:6]
	;; [unrolled: 1-line block ×3, first 2 shown]
	v_cvt_f64_f32_e32 v[17:18], v17
	v_mul_f64 v[15:16], v[15:16], s[0:1]
	global_store_dwordx2 v[19:20], v[1:2], off
	global_store_dwordx2 v[21:22], v[3:4], off
	v_cvt_f32_f64_e32 v5, v[11:12]
	global_load_dwordx2 v[11:12], v[25:26], off offset:3968
	v_mul_f64 v[17:18], v[17:18], s[0:1]
	v_cvt_f32_f64_e32 v6, v[13:14]
	v_mul_f32_e32 v1, v8, v24
	v_add_co_u32_e32 v9, vcc, s3, v21
	v_fmac_f32_e32 v1, v7, v23
	v_addc_co_u32_e32 v10, vcc, v22, v39, vcc
	v_cvt_f64_f32_e32 v[1:2], v1
	global_store_dwordx2 v[9:10], v[5:6], off
	v_cvt_f32_f64_e32 v5, v[15:16]
	v_add_co_u32_e32 v15, vcc, s2, v36
	v_addc_co_u32_e32 v16, vcc, 0, v37, vcc
	v_cvt_f32_f64_e32 v6, v[17:18]
	global_load_dwordx2 v[17:18], v[15:16], off offset:880
	v_mul_f64 v[13:14], v[1:2], s[0:1]
	v_mul_f32_e32 v1, v7, v24
	v_fma_f32 v1, v23, v8, -v1
	v_cvt_f64_f32_e32 v[7:8], v1
	v_mov_b32_e32 v19, s4
	v_add_co_u32_e32 v9, vcc, s3, v9
	v_addc_co_u32_e32 v10, vcc, v10, v19, vcc
	v_add_u32_e32 v1, 0x1000, v99
	global_store_dwordx2 v[9:10], v[5:6], off
	v_mul_f64 v[5:6], v[7:8], s[0:1]
	ds_read2_b64 v[1:4], v1 offset0:118 offset1:244
	v_cvt_f32_f64_e32 v7, v[13:14]
	v_add_co_u32_e32 v9, vcc, s3, v9
	v_addc_co_u32_e32 v10, vcc, v10, v19, vcc
	s_waitcnt vmcnt(8) lgkmcnt(0)
	v_mul_f32_e32 v8, v2, v30
	v_fmac_f32_e32 v8, v1, v29
	v_cvt_f64_f32_e32 v[13:14], v8
	v_cvt_f32_f64_e32 v8, v[5:6]
	global_load_dwordx2 v[5:6], v[15:16], off offset:1888
	global_load_dwordx2 v[19:20], v[15:16], off offset:2896
	v_mul_f32_e32 v1, v1, v30
	v_fma_f32 v1, v29, v2, -v1
	v_cvt_f64_f32_e32 v[1:2], v1
	v_mul_f64 v[13:14], v[13:14], s[0:1]
	global_store_dwordx2 v[9:10], v[7:8], off
	v_mov_b32_e32 v23, s4
	v_mul_f64 v[1:2], v[1:2], s[0:1]
	v_add_co_u32_e32 v9, vcc, s3, v9
	v_addc_co_u32_e32 v10, vcc, v10, v23, vcc
	v_cvt_f32_f64_e32 v7, v[13:14]
	v_cvt_f32_f64_e32 v8, v[1:2]
	s_waitcnt vmcnt(10)
	v_mul_f32_e32 v1, v4, v32
	v_fmac_f32_e32 v1, v3, v31
	v_cvt_f64_f32_e32 v[13:14], v1
	v_mul_f32_e32 v1, v3, v32
	v_fma_f32 v1, v31, v4, -v1
	v_cvt_f64_f32_e32 v[21:22], v1
	v_add_u32_e32 v1, 0x1800, v99
	ds_read2_b64 v[1:4], v1 offset0:114 offset1:240
	global_store_dwordx2 v[9:10], v[7:8], off
	v_mul_f64 v[7:8], v[13:14], s[0:1]
	v_mul_f64 v[13:14], v[21:22], s[0:1]
	v_add_co_u32_e32 v9, vcc, s3, v9
	s_waitcnt vmcnt(10) lgkmcnt(0)
	v_mul_f32_e32 v21, v2, v34
	v_fmac_f32_e32 v21, v1, v33
	v_mul_f32_e32 v1, v1, v34
	v_fma_f32 v1, v33, v2, -v1
	v_cvt_f64_f32_e32 v[1:2], v1
	v_cvt_f64_f32_e32 v[21:22], v21
	v_cvt_f32_f64_e32 v7, v[7:8]
	v_cvt_f32_f64_e32 v8, v[13:14]
	v_mul_f64 v[1:2], v[1:2], s[0:1]
	v_mul_f64 v[13:14], v[21:22], s[0:1]
	v_mov_b32_e32 v21, s4
	v_addc_co_u32_e32 v10, vcc, v10, v21, vcc
	global_store_dwordx2 v[9:10], v[7:8], off
	v_add_co_u32_e32 v9, vcc, s3, v9
	v_cvt_f32_f64_e32 v8, v[1:2]
	s_waitcnt vmcnt(8)
	v_mul_f32_e32 v1, v4, v12
	v_fmac_f32_e32 v1, v3, v11
	v_cvt_f32_f64_e32 v7, v[13:14]
	v_cvt_f64_f32_e32 v[13:14], v1
	v_mul_f32_e32 v1, v3, v12
	v_fma_f32 v1, v11, v4, -v1
	v_cvt_f64_f32_e32 v[11:12], v1
	ds_read2_b64 v[0:3], v0 offset0:110 offset1:236
	v_addc_co_u32_e32 v10, vcc, v10, v21, vcc
	global_store_dwordx2 v[9:10], v[7:8], off
	v_mul_f64 v[7:8], v[13:14], s[0:1]
	s_waitcnt vmcnt(7) lgkmcnt(0)
	v_mul_f32_e32 v4, v1, v18
	v_mul_f64 v[11:12], v[11:12], s[0:1]
	v_fmac_f32_e32 v4, v0, v17
	v_mul_f32_e32 v0, v0, v18
	v_fma_f32 v0, v17, v1, -v0
	v_cvt_f64_f32_e32 v[0:1], v0
	v_cvt_f64_f32_e32 v[13:14], v4
	v_cvt_f32_f64_e32 v7, v[7:8]
	v_mov_b32_e32 v4, s4
	v_mul_f64 v[0:1], v[0:1], s[0:1]
	v_cvt_f32_f64_e32 v8, v[11:12]
	v_mul_f64 v[11:12], v[13:14], s[0:1]
	v_add_co_u32_e32 v9, vcc, s3, v9
	v_addc_co_u32_e32 v10, vcc, v10, v4, vcc
	global_store_dwordx2 v[9:10], v[7:8], off
	v_cvt_f32_f64_e32 v8, v[0:1]
	v_mov_b32_e32 v13, s4
	v_cvt_f32_f64_e32 v7, v[11:12]
	v_add_co_u32_e32 v9, vcc, s3, v9
	s_waitcnt vmcnt(6)
	v_mul_f32_e32 v0, v3, v6
	v_fmac_f32_e32 v0, v2, v5
	v_cvt_f64_f32_e32 v[11:12], v0
	v_mul_f32_e32 v0, v2, v6
	v_fma_f32 v0, v5, v3, -v0
	v_cvt_f64_f32_e32 v[4:5], v0
	v_add_u32_e32 v0, 0x2800, v99
	ds_read2_b64 v[0:3], v0 offset0:106 offset1:232
	v_addc_co_u32_e32 v10, vcc, v10, v13, vcc
	global_store_dwordx2 v[9:10], v[7:8], off
	v_mul_f64 v[6:7], v[11:12], s[0:1]
	v_mul_f64 v[4:5], v[4:5], s[0:1]
	s_waitcnt vmcnt(6) lgkmcnt(0)
	v_mul_f32_e32 v8, v1, v20
	v_fmac_f32_e32 v8, v0, v19
	v_mul_f32_e32 v0, v0, v20
	v_fma_f32 v0, v19, v1, -v0
	v_cvt_f64_f32_e32 v[11:12], v8
	v_cvt_f64_f32_e32 v[0:1], v0
	v_cvt_f32_f64_e32 v6, v[6:7]
	v_cvt_f32_f64_e32 v7, v[4:5]
	v_mul_f64 v[4:5], v[11:12], s[0:1]
	v_mul_f64 v[0:1], v[0:1], s[0:1]
	v_mov_b32_e32 v11, s4
	v_add_co_u32_e32 v8, vcc, s3, v9
	v_addc_co_u32_e32 v9, vcc, v10, v11, vcc
	global_store_dwordx2 v[8:9], v[6:7], off
	v_cvt_f32_f64_e32 v4, v[4:5]
	v_cvt_f32_f64_e32 v5, v[0:1]
	v_mov_b32_e32 v1, s4
	v_add_co_u32_e32 v0, vcc, s3, v8
	v_addc_co_u32_e32 v1, vcc, v9, v1, vcc
	global_store_dwordx2 v[0:1], v[4:5], off
	global_load_dwordx2 v[4:5], v[15:16], off offset:3904
	v_add_co_u32_e32 v0, vcc, s3, v0
	s_waitcnt vmcnt(0)
	v_mul_f32_e32 v6, v3, v5
	v_fmac_f32_e32 v6, v2, v4
	v_mul_f32_e32 v2, v2, v5
	v_fma_f32 v2, v4, v3, -v2
	v_cvt_f64_f32_e32 v[6:7], v6
	v_cvt_f64_f32_e32 v[2:3], v2
	v_mul_f64 v[4:5], v[6:7], s[0:1]
	v_mul_f64 v[2:3], v[2:3], s[0:1]
	v_cvt_f32_f64_e32 v4, v[4:5]
	v_cvt_f32_f64_e32 v5, v[2:3]
	v_mov_b32_e32 v2, s4
	v_addc_co_u32_e32 v1, vcc, v1, v2, vcc
	global_store_dwordx2 v[0:1], v[4:5], off
.LBB0_31:
	s_endpgm
	.section	.rodata,"a",@progbits
	.p2align	6, 0x0
	.amdhsa_kernel bluestein_single_fwd_len1638_dim1_sp_op_CI_CI
		.amdhsa_group_segment_fixed_size 13104
		.amdhsa_private_segment_fixed_size 12
		.amdhsa_kernarg_size 104
		.amdhsa_user_sgpr_count 6
		.amdhsa_user_sgpr_private_segment_buffer 1
		.amdhsa_user_sgpr_dispatch_ptr 0
		.amdhsa_user_sgpr_queue_ptr 0
		.amdhsa_user_sgpr_kernarg_segment_ptr 1
		.amdhsa_user_sgpr_dispatch_id 0
		.amdhsa_user_sgpr_flat_scratch_init 0
		.amdhsa_user_sgpr_private_segment_size 0
		.amdhsa_uses_dynamic_stack 0
		.amdhsa_system_sgpr_private_segment_wavefront_offset 1
		.amdhsa_system_sgpr_workgroup_id_x 1
		.amdhsa_system_sgpr_workgroup_id_y 0
		.amdhsa_system_sgpr_workgroup_id_z 0
		.amdhsa_system_sgpr_workgroup_info 0
		.amdhsa_system_vgpr_workitem_id 0
		.amdhsa_next_free_vgpr 256
		.amdhsa_next_free_sgpr 28
		.amdhsa_reserve_vcc 1
		.amdhsa_reserve_flat_scratch 0
		.amdhsa_float_round_mode_32 0
		.amdhsa_float_round_mode_16_64 0
		.amdhsa_float_denorm_mode_32 3
		.amdhsa_float_denorm_mode_16_64 3
		.amdhsa_dx10_clamp 1
		.amdhsa_ieee_mode 1
		.amdhsa_fp16_overflow 0
		.amdhsa_exception_fp_ieee_invalid_op 0
		.amdhsa_exception_fp_denorm_src 0
		.amdhsa_exception_fp_ieee_div_zero 0
		.amdhsa_exception_fp_ieee_overflow 0
		.amdhsa_exception_fp_ieee_underflow 0
		.amdhsa_exception_fp_ieee_inexact 0
		.amdhsa_exception_int_div_zero 0
	.end_amdhsa_kernel
	.text
.Lfunc_end0:
	.size	bluestein_single_fwd_len1638_dim1_sp_op_CI_CI, .Lfunc_end0-bluestein_single_fwd_len1638_dim1_sp_op_CI_CI
                                        ; -- End function
	.section	.AMDGPU.csdata,"",@progbits
; Kernel info:
; codeLenInByte = 15864
; NumSgprs: 32
; NumVgprs: 256
; ScratchSize: 12
; MemoryBound: 0
; FloatMode: 240
; IeeeMode: 1
; LDSByteSize: 13104 bytes/workgroup (compile time only)
; SGPRBlocks: 3
; VGPRBlocks: 63
; NumSGPRsForWavesPerEU: 32
; NumVGPRsForWavesPerEU: 256
; Occupancy: 1
; WaveLimiterHint : 1
; COMPUTE_PGM_RSRC2:SCRATCH_EN: 1
; COMPUTE_PGM_RSRC2:USER_SGPR: 6
; COMPUTE_PGM_RSRC2:TRAP_HANDLER: 0
; COMPUTE_PGM_RSRC2:TGID_X_EN: 1
; COMPUTE_PGM_RSRC2:TGID_Y_EN: 0
; COMPUTE_PGM_RSRC2:TGID_Z_EN: 0
; COMPUTE_PGM_RSRC2:TIDIG_COMP_CNT: 0
	.type	__hip_cuid_775053a0af857bdd,@object ; @__hip_cuid_775053a0af857bdd
	.section	.bss,"aw",@nobits
	.globl	__hip_cuid_775053a0af857bdd
__hip_cuid_775053a0af857bdd:
	.byte	0                               ; 0x0
	.size	__hip_cuid_775053a0af857bdd, 1

	.ident	"AMD clang version 19.0.0git (https://github.com/RadeonOpenCompute/llvm-project roc-6.4.0 25133 c7fe45cf4b819c5991fe208aaa96edf142730f1d)"
	.section	".note.GNU-stack","",@progbits
	.addrsig
	.addrsig_sym __hip_cuid_775053a0af857bdd
	.amdgpu_metadata
---
amdhsa.kernels:
  - .args:
      - .actual_access:  read_only
        .address_space:  global
        .offset:         0
        .size:           8
        .value_kind:     global_buffer
      - .actual_access:  read_only
        .address_space:  global
        .offset:         8
        .size:           8
        .value_kind:     global_buffer
      - .actual_access:  read_only
        .address_space:  global
        .offset:         16
        .size:           8
        .value_kind:     global_buffer
      - .actual_access:  read_only
        .address_space:  global
        .offset:         24
        .size:           8
        .value_kind:     global_buffer
      - .actual_access:  read_only
        .address_space:  global
        .offset:         32
        .size:           8
        .value_kind:     global_buffer
      - .offset:         40
        .size:           8
        .value_kind:     by_value
      - .address_space:  global
        .offset:         48
        .size:           8
        .value_kind:     global_buffer
      - .address_space:  global
        .offset:         56
        .size:           8
        .value_kind:     global_buffer
      - .address_space:  global
        .offset:         64
        .size:           8
        .value_kind:     global_buffer
      - .address_space:  global
        .offset:         72
        .size:           8
        .value_kind:     global_buffer
      - .offset:         80
        .size:           4
        .value_kind:     by_value
      - .address_space:  global
        .offset:         88
        .size:           8
        .value_kind:     global_buffer
      - .address_space:  global
        .offset:         96
        .size:           8
        .value_kind:     global_buffer
    .group_segment_fixed_size: 13104
    .kernarg_segment_align: 8
    .kernarg_segment_size: 104
    .language:       OpenCL C
    .language_version:
      - 2
      - 0
    .max_flat_workgroup_size: 182
    .name:           bluestein_single_fwd_len1638_dim1_sp_op_CI_CI
    .private_segment_fixed_size: 12
    .sgpr_count:     32
    .sgpr_spill_count: 0
    .symbol:         bluestein_single_fwd_len1638_dim1_sp_op_CI_CI.kd
    .uniform_work_group_size: 1
    .uses_dynamic_stack: false
    .vgpr_count:     256
    .vgpr_spill_count: 2
    .wavefront_size: 64
amdhsa.target:   amdgcn-amd-amdhsa--gfx906
amdhsa.version:
  - 1
  - 2
...

	.end_amdgpu_metadata
